;; amdgpu-corpus repo=ROCm/rocFFT kind=compiled arch=gfx1100 opt=O3
	.text
	.amdgcn_target "amdgcn-amd-amdhsa--gfx1100"
	.amdhsa_code_object_version 6
	.protected	bluestein_single_fwd_len595_dim1_dp_op_CI_CI ; -- Begin function bluestein_single_fwd_len595_dim1_dp_op_CI_CI
	.globl	bluestein_single_fwd_len595_dim1_dp_op_CI_CI
	.p2align	8
	.type	bluestein_single_fwd_len595_dim1_dp_op_CI_CI,@function
bluestein_single_fwd_len595_dim1_dp_op_CI_CI: ; @bluestein_single_fwd_len595_dim1_dp_op_CI_CI
; %bb.0:
	s_load_b128 s[16:19], s[0:1], 0x28
	v_mul_u32_u24_e32 v1, 0xf10, v0
	s_mov_b32 s2, exec_lo
	s_delay_alu instid0(VALU_DEP_1) | instskip(NEXT) | instid1(VALU_DEP_1)
	v_lshrrev_b32_e32 v1, 16, v1
	v_mad_u64_u32 v[145:146], null, s15, 3, v[1:2]
	v_mov_b32_e32 v146, 0
                                        ; kill: def $vgpr2 killed $sgpr0 killed $exec
	s_waitcnt lgkmcnt(0)
	s_delay_alu instid0(VALU_DEP_1)
	v_cmpx_gt_u64_e64 s[16:17], v[145:146]
	s_cbranch_execz .LBB0_10
; %bb.1:
	s_clause 0x1
	s_load_b128 s[4:7], s[0:1], 0x18
	s_load_b128 s[8:11], s[0:1], 0x0
	v_mul_lo_u16 v1, v1, 17
	s_mov_b32 s16, 0xaaaaaaaa
	s_mov_b32 s24, 0x37e14327
	;; [unrolled: 1-line block ×4, first 2 shown]
	v_sub_nc_u16 v152, v0, v1
	s_mov_b32 s20, 0xe976ee23
	s_mov_b32 s22, 0xb247c609
	;; [unrolled: 1-line block ×4, first 2 shown]
	v_and_b32_e32 v181, 0xffff, v152
	v_mul_lo_u16 v161, v152, 7
	s_mov_b32 s23, 0x3fd5d0dc
	s_mov_b32 s29, 0xbfd5d0dc
	;; [unrolled: 1-line block ×3, first 2 shown]
	v_or_b32_e32 v11, 0x220, v181
	v_and_b32_e32 v161, 0xffff, v161
	s_waitcnt lgkmcnt(0)
	s_load_b128 s[12:15], s[4:5], 0x0
	s_waitcnt lgkmcnt(0)
	v_mad_u64_u32 v[0:1], null, s14, v145, 0
	v_mad_u64_u32 v[2:3], null, s12, v181, 0
	s_mul_i32 s2, s13, 0x550
	s_mul_hi_u32 s4, s12, 0x550
	s_mul_i32 s3, s12, 0x550
	s_add_i32 s2, s4, s2
	s_mul_i32 s14, s13, 0xffffe130
	s_mul_i32 s5, s12, 0xffffe130
	s_delay_alu instid0(VALU_DEP_1) | instskip(SKIP_1) | instid1(VALU_DEP_2)
	v_mad_u64_u32 v[4:5], null, s15, v145, v[1:2]
	v_mad_u64_u32 v[5:6], null, s12, v11, 0
	;; [unrolled: 1-line block ×3, first 2 shown]
	s_delay_alu instid0(VALU_DEP_2) | instskip(SKIP_1) | instid1(VALU_DEP_3)
	v_dual_mov_b32 v1, v4 :: v_dual_mov_b32 v4, v6
	v_add_co_u32 v218, null, v181, 34
	v_mov_b32_e32 v3, v7
	s_delay_alu instid0(VALU_DEP_3) | instskip(SKIP_2) | instid1(VALU_DEP_4)
	v_mad_u64_u32 v[6:7], null, s13, v11, v[4:5]
	v_lshlrev_b32_e32 v4, 4, v181
	v_lshlrev_b64 v[0:1], 4, v[0:1]
	v_lshlrev_b64 v[2:3], 4, v[2:3]
	s_mulk_i32 s13, 0xe680
	s_delay_alu instid0(VALU_DEP_2) | instskip(NEXT) | instid1(VALU_DEP_3)
	v_add_co_u32 v9, vcc_lo, s18, v0
	v_add_co_ci_u32_e32 v10, vcc_lo, s19, v1, vcc_lo
	s_mov_b32 s18, 0x5476071b
	s_delay_alu instid0(VALU_DEP_2) | instskip(NEXT) | instid1(VALU_DEP_2)
	v_add_co_u32 v0, vcc_lo, v9, v2
	v_add_co_ci_u32_e32 v1, vcc_lo, v10, v3, vcc_lo
	v_lshlrev_b64 v[2:3], 4, v[5:6]
	global_load_b128 v[93:96], v4, s[8:9]
	global_load_b128 v[5:8], v[0:1], off
	scratch_store_b32 off, v11, off offset:472 ; 4-byte Folded Spill
	v_lshlrev_b32_e32 v11, 4, v11
	s_mov_b32 s19, 0x3fe77f67
	v_add_co_u32 v2, vcc_lo, v9, v2
	v_add_co_ci_u32_e32 v3, vcc_lo, v10, v3, vcc_lo
	v_add_co_u32 v0, vcc_lo, v0, s3
	v_add_co_ci_u32_e32 v1, vcc_lo, s2, v1, vcc_lo
	scratch_store_b32 off, v11, off offset:1328 ; 4-byte Folded Spill
	global_load_b128 v[57:60], v11, s[8:9]
	global_load_b128 v[9:12], v[2:3], off
	global_load_b128 v[89:92], v4, s[8:9] offset:1360
	global_load_b128 v[13:16], v[0:1], off
	v_add_co_u32 v0, vcc_lo, v0, s3
	v_add_co_ci_u32_e32 v1, vcc_lo, s2, v1, vcc_lo
	global_load_b128 v[85:88], v4, s[8:9] offset:2720
	global_load_b128 v[17:20], v[0:1], off
	v_add_co_u32 v25, vcc_lo, v0, s3
	v_add_co_ci_u32_e32 v26, vcc_lo, s2, v1, vcc_lo
	global_load_b128 v[73:76], v4, s[8:9] offset:4080
	global_load_b128 v[21:24], v[25:26], off
	v_add_co_u32 v2, s4, s8, v4
	s_delay_alu instid0(VALU_DEP_1) | instskip(SKIP_1) | instid1(VALU_DEP_2)
	v_add_co_ci_u32_e64 v3, null, s9, 0, s4
	s_mul_hi_u32 s4, s12, 0xffffe130
	v_add_co_u32 v0, vcc_lo, 0x1000, v2
	s_delay_alu instid0(VALU_DEP_2)
	v_add_co_ci_u32_e32 v1, vcc_lo, 0, v3, vcc_lo
	v_add_co_u32 v29, vcc_lo, v25, s3
	v_add_co_ci_u32_e32 v30, vcc_lo, s2, v26, vcc_lo
	global_load_b128 v[81:84], v[0:1], off offset:1344
	global_load_b128 v[25:28], v[29:30], off
	v_add_co_u32 v33, vcc_lo, v29, s3
	v_add_co_ci_u32_e32 v34, vcc_lo, s2, v30, vcc_lo
	global_load_b128 v[65:68], v[0:1], off offset:2704
	global_load_b128 v[29:32], v[33:34], off
	;; [unrolled: 4-line block ×3, first 2 shown]
	s_sub_i32 s4, s4, s12
	v_add_co_u32 v41, vcc_lo, v37, s5
	s_add_i32 s4, s4, s14
	s_mov_b32 s14, 0x429ad128
	v_add_co_ci_u32_e32 v42, vcc_lo, s4, v38, vcc_lo
	global_load_b128 v[77:80], v4, s[8:9] offset:272
	global_load_b128 v[37:40], v[41:42], off
	v_add_co_u32 v45, vcc_lo, v41, s3
	v_add_co_ci_u32_e32 v46, vcc_lo, s2, v42, vcc_lo
	global_load_b128 v[61:64], v4, s[8:9] offset:1632
	global_load_b128 v[41:44], v[45:46], off
	v_add_co_u32 v55, vcc_lo, v45, s3
	v_add_co_ci_u32_e32 v56, vcc_lo, s2, v46, vcc_lo
	global_load_b128 v[97:100], v4, s[8:9] offset:2992
	s_mov_b32 s15, 0x3febfeb5
	s_mov_b32 s26, s18
	s_waitcnt vmcnt(20)
	scratch_store_b128 off, v[93:96], off offset:620 ; 16-byte Folded Spill
	s_waitcnt vmcnt(19)
	v_mul_f64 v[47:48], v[7:8], v[95:96]
	v_mul_f64 v[49:50], v[5:6], v[95:96]
	s_waitcnt vmcnt(18)
	scratch_store_b128 off, v[57:60], off offset:476 ; 16-byte Folded Spill
	s_waitcnt vmcnt(17)
	v_mul_f64 v[51:52], v[11:12], v[59:60]
	v_mul_f64 v[53:54], v[9:10], v[59:60]
	s_waitcnt vmcnt(16)
	scratch_store_b128 off, v[89:92], off offset:604 ; 16-byte Folded Spill
	s_waitcnt vmcnt(14)
	scratch_store_b128 off, v[85:88], off offset:588 ; 16-byte Folded Spill
	;; [unrolled: 2-line block ×3, first 2 shown]
	v_fma_f64 v[5:6], v[5:6], v[93:94], v[47:48]
	global_load_b128 v[45:48], v[55:56], off
	v_fma_f64 v[7:8], v[7:8], v[93:94], -v[49:50]
	v_mul_f64 v[49:50], v[15:16], v[91:92]
	s_waitcnt vmcnt(11)
	scratch_store_b128 off, v[81:84], off offset:572 ; 16-byte Folded Spill
	s_waitcnt vmcnt(9)
	scratch_store_b128 off, v[65:68], off offset:508 ; 16-byte Folded Spill
	v_fma_f64 v[9:10], v[9:10], v[57:58], v[51:52]
	v_mul_f64 v[51:52], v[13:14], v[91:92]
	v_fma_f64 v[11:12], v[11:12], v[57:58], -v[53:54]
	v_mul_f64 v[53:54], v[19:20], v[87:88]
	s_waitcnt vmcnt(7)
	scratch_store_b128 off, v[69:72], off offset:524 ; 16-byte Folded Spill
	s_waitcnt vmcnt(5)
	scratch_store_b128 off, v[77:80], off offset:556 ; 16-byte Folded Spill
	;; [unrolled: 2-line block ×3, first 2 shown]
	v_fma_f64 v[13:14], v[13:14], v[89:90], v[49:50]
	v_mul_f64 v[49:50], v[17:18], v[87:88]
	s_waitcnt vmcnt(1)
	scratch_store_b128 off, v[97:100], off offset:796 ; 16-byte Folded Spill
	v_fma_f64 v[15:16], v[15:16], v[89:90], -v[51:52]
	v_mul_f64 v[51:52], v[23:24], v[75:76]
	v_fma_f64 v[17:18], v[17:18], v[85:86], v[53:54]
	v_mul_f64 v[53:54], v[27:28], v[83:84]
	v_fma_f64 v[19:20], v[19:20], v[85:86], -v[49:50]
	v_mul_f64 v[49:50], v[21:22], v[75:76]
	v_fma_f64 v[21:22], v[21:22], v[73:74], v[51:52]
	v_mul_f64 v[51:52], v[31:32], v[67:68]
	s_delay_alu instid0(VALU_DEP_3) | instskip(SKIP_3) | instid1(VALU_DEP_3)
	v_fma_f64 v[23:24], v[23:24], v[73:74], -v[49:50]
	v_mul_f64 v[49:50], v[25:26], v[83:84]
	v_fma_f64 v[25:26], v[25:26], v[81:82], v[53:54]
	v_mul_f64 v[53:54], v[35:36], v[71:72]
	v_fma_f64 v[27:28], v[27:28], v[81:82], -v[49:50]
	v_mul_f64 v[49:50], v[29:30], v[67:68]
	v_fma_f64 v[29:30], v[29:30], v[65:66], v[51:52]
	v_mul_f64 v[51:52], v[39:40], v[79:80]
	s_delay_alu instid0(VALU_DEP_3) | instskip(SKIP_3) | instid1(VALU_DEP_3)
	v_fma_f64 v[31:32], v[31:32], v[65:66], -v[49:50]
	v_mul_f64 v[49:50], v[33:34], v[71:72]
	v_fma_f64 v[33:34], v[33:34], v[69:70], v[53:54]
	v_mul_f64 v[53:54], v[43:44], v[63:64]
	v_fma_f64 v[35:36], v[35:36], v[69:70], -v[49:50]
	v_mul_f64 v[49:50], v[37:38], v[79:80]
	v_fma_f64 v[37:38], v[37:38], v[77:78], v[51:52]
	s_delay_alu instid0(VALU_DEP_2) | instskip(SKIP_4) | instid1(VALU_DEP_4)
	v_fma_f64 v[39:40], v[39:40], v[77:78], -v[49:50]
	v_mul_f64 v[49:50], v[41:42], v[63:64]
	v_fma_f64 v[41:42], v[41:42], v[61:62], v[53:54]
	v_add_co_u32 v53, vcc_lo, v55, s3
	v_add_co_ci_u32_e32 v54, vcc_lo, s2, v56, vcc_lo
	v_fma_f64 v[43:44], v[43:44], v[61:62], -v[49:50]
	s_waitcnt vmcnt(0)
	v_mul_f64 v[51:52], v[47:48], v[99:100]
	v_mul_f64 v[49:50], v[45:46], v[99:100]
	s_delay_alu instid0(VALU_DEP_2) | instskip(NEXT) | instid1(VALU_DEP_2)
	v_fma_f64 v[45:46], v[45:46], v[97:98], v[51:52]
	v_fma_f64 v[47:48], v[47:48], v[97:98], -v[49:50]
	global_load_b128 v[59:62], v[0:1], off offset:256
	global_load_b128 v[49:52], v[53:54], off
	s_waitcnt vmcnt(1)
	scratch_store_b128 off, v[59:62], off offset:924 ; 16-byte Folded Spill
	s_waitcnt vmcnt(0)
	v_mul_f64 v[57:58], v[49:50], v[61:62]
	v_mul_f64 v[55:56], v[51:52], v[61:62]
	s_delay_alu instid0(VALU_DEP_2) | instskip(SKIP_2) | instid1(VALU_DEP_4)
	v_fma_f64 v[51:52], v[51:52], v[59:60], -v[57:58]
	v_add_co_u32 v57, vcc_lo, v53, s3
	v_add_co_ci_u32_e32 v58, vcc_lo, s2, v54, vcc_lo
	v_fma_f64 v[49:50], v[49:50], v[59:60], v[55:56]
	global_load_b128 v[63:66], v[0:1], off offset:1616
	global_load_b128 v[53:56], v[57:58], off
	s_waitcnt vmcnt(1)
	scratch_store_b128 off, v[63:66], off offset:956 ; 16-byte Folded Spill
	s_waitcnt vmcnt(0)
	v_mul_f64 v[61:62], v[53:54], v[65:66]
	v_mul_f64 v[59:60], v[55:56], v[65:66]
	s_delay_alu instid0(VALU_DEP_2) | instskip(SKIP_2) | instid1(VALU_DEP_4)
	v_fma_f64 v[55:56], v[55:56], v[63:64], -v[61:62]
	v_add_co_u32 v61, vcc_lo, v57, s3
	v_add_co_ci_u32_e32 v62, vcc_lo, s2, v58, vcc_lo
	v_fma_f64 v[53:54], v[53:54], v[63:64], v[59:60]
	global_load_b128 v[67:70], v[0:1], off offset:2976
	global_load_b128 v[57:60], v[61:62], off
	s_waitcnt vmcnt(1)
	scratch_store_b128 off, v[67:70], off offset:988 ; 16-byte Folded Spill
	s_waitcnt vmcnt(0)
	v_mul_f64 v[65:66], v[57:58], v[69:70]
	v_mul_f64 v[63:64], v[59:60], v[69:70]
	s_delay_alu instid0(VALU_DEP_2)
	v_fma_f64 v[59:60], v[59:60], v[67:68], -v[65:66]
	v_add_co_u32 v65, vcc_lo, v61, s3
	v_add_co_ci_u32_e32 v66, vcc_lo, s2, v62, vcc_lo
	v_add_co_u32 v137, vcc_lo, 0x2000, v2
	v_add_co_ci_u32_e32 v138, vcc_lo, 0, v3, vcc_lo
	v_fma_f64 v[57:58], v[57:58], v[67:68], v[63:64]
	global_load_b128 v[69:72], v[137:138], off offset:240
	global_load_b128 v[61:64], v[65:66], off
	s_waitcnt vmcnt(1)
	scratch_store_b128 off, v[69:72], off offset:1004 ; 16-byte Folded Spill
	s_waitcnt vmcnt(0)
	v_mul_f64 v[2:3], v[63:64], v[71:72]
	v_mul_f64 v[67:68], v[61:62], v[71:72]
	s_delay_alu instid0(VALU_DEP_2) | instskip(SKIP_2) | instid1(VALU_DEP_4)
	v_fma_f64 v[61:62], v[61:62], v[69:70], v[2:3]
	v_add_co_u32 v2, vcc_lo, v65, s5
	v_add_co_ci_u32_e32 v3, vcc_lo, s4, v66, vcc_lo
	v_fma_f64 v[63:64], v[63:64], v[69:70], -v[67:68]
	global_load_b128 v[73:76], v4, s[8:9] offset:544
	global_load_b128 v[65:68], v[2:3], off
	v_add_co_u32 v2, vcc_lo, v2, s3
	v_add_co_ci_u32_e32 v3, vcc_lo, s2, v3, vcc_lo
	s_waitcnt vmcnt(1)
	scratch_store_b128 off, v[73:76], off offset:1020 ; 16-byte Folded Spill
	s_waitcnt vmcnt(0)
	v_mul_f64 v[69:70], v[67:68], v[75:76]
	v_mul_f64 v[71:72], v[65:66], v[75:76]
	s_delay_alu instid0(VALU_DEP_2) | instskip(NEXT) | instid1(VALU_DEP_2)
	v_fma_f64 v[65:66], v[65:66], v[73:74], v[69:70]
	v_fma_f64 v[67:68], v[67:68], v[73:74], -v[71:72]
	global_load_b128 v[77:80], v4, s[8:9] offset:1904
	global_load_b128 v[69:72], v[2:3], off
	v_add_co_u32 v2, vcc_lo, v2, s3
	v_add_co_ci_u32_e32 v3, vcc_lo, s2, v3, vcc_lo
	s_waitcnt vmcnt(1)
	scratch_store_b128 off, v[77:80], off offset:876 ; 16-byte Folded Spill
	s_waitcnt vmcnt(0)
	v_mul_f64 v[73:74], v[71:72], v[79:80]
	v_mul_f64 v[75:76], v[69:70], v[79:80]
	s_delay_alu instid0(VALU_DEP_2) | instskip(NEXT) | instid1(VALU_DEP_2)
	v_fma_f64 v[69:70], v[69:70], v[77:78], v[73:74]
	;; [unrolled: 12-line block ×3, first 2 shown]
	v_fma_f64 v[75:76], v[75:76], v[81:82], -v[79:80]
	global_load_b128 v[85:88], v[0:1], off offset:528
	global_load_b128 v[77:80], v[2:3], off
	v_add_co_u32 v2, vcc_lo, v2, s3
	v_add_co_ci_u32_e32 v3, vcc_lo, s2, v3, vcc_lo
	s_waitcnt vmcnt(1)
	scratch_store_b128 off, v[85:88], off offset:908 ; 16-byte Folded Spill
	s_waitcnt vmcnt(0)
	v_mul_f64 v[81:82], v[79:80], v[87:88]
	v_mul_f64 v[83:84], v[77:78], v[87:88]
	s_delay_alu instid0(VALU_DEP_2) | instskip(NEXT) | instid1(VALU_DEP_2)
	v_fma_f64 v[77:78], v[77:78], v[85:86], v[81:82]
	v_fma_f64 v[79:80], v[79:80], v[85:86], -v[83:84]
	global_load_b128 v[89:92], v[0:1], off offset:1888
	global_load_b128 v[81:84], v[2:3], off
	v_add_co_u32 v2, vcc_lo, v2, s3
	v_add_co_ci_u32_e32 v3, vcc_lo, s2, v3, vcc_lo
	s_waitcnt vmcnt(1)
	scratch_store_b128 off, v[89:92], off offset:940 ; 16-byte Folded Spill
	s_waitcnt vmcnt(0)
	v_mul_f64 v[85:86], v[83:84], v[91:92]
	v_mul_f64 v[87:88], v[81:82], v[91:92]
	s_delay_alu instid0(VALU_DEP_2) | instskip(NEXT) | instid1(VALU_DEP_2)
	v_fma_f64 v[81:82], v[81:82], v[89:90], v[85:86]
	v_fma_f64 v[83:84], v[83:84], v[89:90], -v[87:88]
	global_load_b128 v[93:96], v[0:1], off offset:3248
	global_load_b128 v[85:88], v[2:3], off
	s_waitcnt vmcnt(1)
	scratch_store_b128 off, v[93:96], off offset:972 ; 16-byte Folded Spill
	s_waitcnt vmcnt(0)
	v_mul_f64 v[89:90], v[87:88], v[95:96]
	v_mul_f64 v[91:92], v[85:86], v[95:96]
	s_delay_alu instid0(VALU_DEP_2) | instskip(NEXT) | instid1(VALU_DEP_2)
	v_fma_f64 v[85:86], v[85:86], v[93:94], v[89:90]
	v_fma_f64 v[87:88], v[87:88], v[93:94], -v[91:92]
	v_mad_u64_u32 v[93:94], null, 0xffffe680, s12, v[2:3]
	s_sub_i32 s12, s13, s12
	s_delay_alu instid0(VALU_DEP_1) | instid1(SALU_CYCLE_1)
	v_add_nc_u32_e32 v94, s12, v94
	global_load_b128 v[97:100], v4, s[8:9] offset:816
	global_load_b128 v[89:92], v[93:94], off
	s_mov_b32 s12, 0x37c3f68c
	s_mov_b32 s13, 0x3fdc38aa
	s_waitcnt vmcnt(1)
	scratch_store_b128 off, v[97:100], off offset:844 ; 16-byte Folded Spill
	s_waitcnt vmcnt(0)
	v_mul_f64 v[2:3], v[91:92], v[99:100]
	v_mul_f64 v[95:96], v[89:90], v[99:100]
	s_delay_alu instid0(VALU_DEP_2) | instskip(SKIP_2) | instid1(VALU_DEP_4)
	v_fma_f64 v[89:90], v[89:90], v[97:98], v[2:3]
	v_add_co_u32 v2, vcc_lo, v93, s3
	v_add_co_ci_u32_e32 v3, vcc_lo, s2, v94, vcc_lo
	v_fma_f64 v[91:92], v[91:92], v[97:98], -v[95:96]
	global_load_b128 v[101:104], v4, s[8:9] offset:2176
	global_load_b128 v[93:96], v[2:3], off
	v_add_co_u32 v2, vcc_lo, v2, s3
	v_add_co_ci_u32_e32 v3, vcc_lo, s2, v3, vcc_lo
	s_waitcnt vmcnt(1)
	scratch_store_b128 off, v[101:104], off offset:828 ; 16-byte Folded Spill
	s_waitcnt vmcnt(0)
	v_mul_f64 v[97:98], v[95:96], v[103:104]
	v_mul_f64 v[99:100], v[93:94], v[103:104]
	s_delay_alu instid0(VALU_DEP_2) | instskip(NEXT) | instid1(VALU_DEP_2)
	v_fma_f64 v[93:94], v[93:94], v[101:102], v[97:98]
	v_fma_f64 v[95:96], v[95:96], v[101:102], -v[99:100]
	global_load_b128 v[105:108], v4, s[8:9] offset:3536
	global_load_b128 v[97:100], v[2:3], off
	v_add_co_u32 v2, vcc_lo, v2, s3
	v_add_co_ci_u32_e32 v3, vcc_lo, s2, v3, vcc_lo
	s_waitcnt vmcnt(1)
	scratch_store_b128 off, v[105:108], off offset:860 ; 16-byte Folded Spill
	s_waitcnt vmcnt(0)
	v_mul_f64 v[101:102], v[99:100], v[107:108]
	v_mul_f64 v[103:104], v[97:98], v[107:108]
	s_delay_alu instid0(VALU_DEP_2) | instskip(NEXT) | instid1(VALU_DEP_2)
	v_fma_f64 v[97:98], v[97:98], v[105:106], v[101:102]
	v_fma_f64 v[99:100], v[99:100], v[105:106], -v[103:104]
	global_load_b128 v[109:112], v[0:1], off offset:800
	global_load_b128 v[101:104], v[2:3], off
	v_add_co_u32 v2, vcc_lo, v2, s3
	v_add_co_ci_u32_e32 v3, vcc_lo, s2, v3, vcc_lo
	s_waitcnt vmcnt(1)
	scratch_store_b128 off, v[109:112], off offset:812 ; 16-byte Folded Spill
	s_waitcnt vmcnt(0)
	v_mul_f64 v[105:106], v[103:104], v[111:112]
	v_mul_f64 v[107:108], v[101:102], v[111:112]
	s_delay_alu instid0(VALU_DEP_2) | instskip(NEXT) | instid1(VALU_DEP_2)
	v_fma_f64 v[101:102], v[101:102], v[109:110], v[105:106]
	v_fma_f64 v[103:104], v[103:104], v[109:110], -v[107:108]
	global_load_b128 v[113:116], v[0:1], off offset:2160
	;; [unrolled: 12-line block ×4, first 2 shown]
	global_load_b128 v[113:116], v[2:3], off
	v_add_co_u32 v2, vcc_lo, v2, s5
	v_add_co_ci_u32_e32 v3, vcc_lo, s4, v3, vcc_lo
	s_waitcnt vmcnt(1)
	scratch_store_b128 off, v[121:124], off offset:732 ; 16-byte Folded Spill
	s_waitcnt vmcnt(0)
	v_mul_f64 v[117:118], v[115:116], v[123:124]
	v_mul_f64 v[119:120], v[113:114], v[123:124]
	s_delay_alu instid0(VALU_DEP_2) | instskip(NEXT) | instid1(VALU_DEP_2)
	v_fma_f64 v[113:114], v[113:114], v[121:122], v[117:118]
	v_fma_f64 v[115:116], v[115:116], v[121:122], -v[119:120]
	global_load_b128 v[125:128], v4, s[8:9] offset:1088
	global_load_b128 v[117:120], v[2:3], off
	v_add_co_u32 v2, vcc_lo, v2, s3
	v_add_co_ci_u32_e32 v3, vcc_lo, s2, v3, vcc_lo
	s_waitcnt vmcnt(1)
	scratch_store_b128 off, v[125:128], off offset:716 ; 16-byte Folded Spill
	s_waitcnt vmcnt(0)
	v_mul_f64 v[121:122], v[119:120], v[127:128]
	v_mul_f64 v[123:124], v[117:118], v[127:128]
	s_delay_alu instid0(VALU_DEP_2) | instskip(NEXT) | instid1(VALU_DEP_2)
	v_fma_f64 v[117:118], v[117:118], v[125:126], v[121:122]
	v_fma_f64 v[119:120], v[119:120], v[125:126], -v[123:124]
	global_load_b128 v[129:132], v4, s[8:9] offset:2448
	;; [unrolled: 12-line block ×3, first 2 shown]
	global_load_b128 v[125:128], v[2:3], off
	v_add_co_u32 v2, vcc_lo, v2, s3
	v_add_co_ci_u32_e32 v3, vcc_lo, s2, v3, vcc_lo
	s_waitcnt vmcnt(1)
	scratch_store_b128 off, v[133:136], off offset:668 ; 16-byte Folded Spill
	s_waitcnt vmcnt(0)
	v_mul_f64 v[129:130], v[127:128], v[135:136]
	v_mul_f64 v[131:132], v[125:126], v[135:136]
	s_delay_alu instid0(VALU_DEP_2) | instskip(NEXT) | instid1(VALU_DEP_2)
	v_fma_f64 v[125:126], v[125:126], v[133:134], v[129:130]
	v_fma_f64 v[127:128], v[127:128], v[133:134], -v[131:132]
	global_load_b128 v[139:142], v[0:1], off offset:1072
	global_load_b128 v[129:132], v[2:3], off
	v_add_co_u32 v2, vcc_lo, v2, s3
	v_add_co_ci_u32_e32 v3, vcc_lo, s2, v3, vcc_lo
	s_waitcnt vmcnt(1)
	scratch_store_b128 off, v[139:142], off offset:700 ; 16-byte Folded Spill
	s_waitcnt vmcnt(0)
	v_mul_f64 v[133:134], v[131:132], v[141:142]
	v_mul_f64 v[135:136], v[129:130], v[141:142]
	s_delay_alu instid0(VALU_DEP_2) | instskip(NEXT) | instid1(VALU_DEP_2)
	v_fma_f64 v[129:130], v[129:130], v[139:140], v[133:134]
	v_fma_f64 v[131:132], v[131:132], v[139:140], -v[135:136]
	global_load_b128 v[146:149], v[0:1], off offset:2432
	global_load_b128 v[133:136], v[2:3], off
	s_waitcnt vmcnt(1)
	scratch_store_b128 off, v[146:149], off offset:748 ; 16-byte Folded Spill
	s_waitcnt vmcnt(0)
	v_mul_f64 v[139:140], v[135:136], v[148:149]
	v_mul_f64 v[141:142], v[133:134], v[148:149]
	s_delay_alu instid0(VALU_DEP_2) | instskip(SKIP_2) | instid1(VALU_DEP_4)
	v_fma_f64 v[133:134], v[133:134], v[146:147], v[139:140]
	v_add_co_u32 v139, vcc_lo, v2, s3
	v_add_co_ci_u32_e32 v140, vcc_lo, s2, v3, vcc_lo
	v_fma_f64 v[135:136], v[135:136], v[146:147], -v[141:142]
	global_load_b128 v[146:149], v[0:1], off offset:3792
	global_load_b128 v[0:3], v[139:140], off
	v_add_co_u32 v139, vcc_lo, v139, s3
	v_add_co_ci_u32_e32 v140, vcc_lo, s2, v140, vcc_lo
	s_mov_b32 s2, 0x36b3c0b5
	s_mov_b32 s3, 0x3fac98ee
	v_cmp_eq_u16_e64 vcc_lo, 0, v152
	s_waitcnt vmcnt(1)
	scratch_store_b128 off, v[146:149], off offset:764 ; 16-byte Folded Spill
	s_waitcnt vmcnt(0)
	v_mul_f64 v[141:142], v[2:3], v[148:149]
	v_mul_f64 v[143:144], v[0:1], v[148:149]
	s_delay_alu instid0(VALU_DEP_2) | instskip(NEXT) | instid1(VALU_DEP_2)
	v_fma_f64 v[0:1], v[0:1], v[146:147], v[141:142]
	v_fma_f64 v[2:3], v[2:3], v[146:147], -v[143:144]
	global_load_b128 v[146:149], v[137:138], off offset:1056
	global_load_b128 v[137:140], v[139:140], off
	s_waitcnt vmcnt(0)
	v_mul_f64 v[141:142], v[139:140], v[148:149]
	v_mul_f64 v[143:144], v[137:138], v[148:149]
	s_delay_alu instid0(VALU_DEP_2) | instskip(SKIP_2) | instid1(VALU_DEP_4)
	v_fma_f64 v[137:138], v[137:138], v[146:147], v[141:142]
	v_mul_hi_u32 v141, 0xaaaaaaab, v145
	v_mov_b32_e32 v142, v145
	v_fma_f64 v[139:140], v[139:140], v[146:147], -v[143:144]
	s_clause 0x1
	scratch_store_b128 off, v[146:149], off offset:780
	scratch_store_b64 off, v[142:143], off offset:464
	v_lshrrev_b32_e32 v141, 1, v141
	s_delay_alu instid0(VALU_DEP_1) | instskip(NEXT) | instid1(VALU_DEP_1)
	v_lshl_add_u32 v141, v141, 1, v141
	v_sub_nc_u32_e32 v141, v145, v141
	s_delay_alu instid0(VALU_DEP_1) | instskip(NEXT) | instid1(VALU_DEP_1)
	v_mul_u32_u24_e32 v141, 0x253, v141
	v_lshlrev_b32_e32 v208, 4, v141
	s_delay_alu instid0(VALU_DEP_1)
	v_add_nc_u32_e32 v252, v4, v208
	ds_store_b128 v252, v[5:8]
	ds_store_b128 v252, v[9:12] offset:8704
	ds_store_b128 v252, v[13:16] offset:1360
	;; [unrolled: 1-line block ×34, first 2 shown]
	s_load_b128 s[4:7], s[6:7], 0x0
	s_waitcnt lgkmcnt(0)
	s_waitcnt_vscnt null, 0x0
	s_barrier
	buffer_gl0_inv
	ds_load_b128 v[0:3], v252 offset:1360
	ds_load_b128 v[8:11], v252 offset:8160
	v_lshl_add_u32 v182, v161, 4, v208
	s_waitcnt lgkmcnt(0)
	v_add_f64 v[4:5], v[0:1], v[8:9]
	v_add_f64 v[6:7], v[2:3], v[10:11]
	v_add_f64 v[20:21], v[0:1], -v[8:9]
	v_add_f64 v[22:23], v[2:3], -v[10:11]
	ds_load_b128 v[0:3], v252 offset:6800
	ds_load_b128 v[8:11], v252 offset:2720
	s_waitcnt lgkmcnt(0)
	v_add_f64 v[38:39], v[8:9], v[0:1]
	v_add_f64 v[36:37], v[10:11], v[2:3]
	v_add_f64 v[34:35], v[8:9], -v[0:1]
	v_add_f64 v[32:33], v[10:11], -v[2:3]
	ds_load_b128 v[0:3], v252 offset:4080
	ds_load_b128 v[8:11], v252 offset:5440
	;; [unrolled: 7-line block ×3, first 2 shown]
	v_add_f64 v[161:162], v[36:37], -v[6:7]
	v_add_f64 v[165:166], v[34:35], -v[20:21]
	;; [unrolled: 1-line block ×3, first 2 shown]
	s_waitcnt lgkmcnt(0)
	v_add_f64 v[40:41], v[8:9], v[0:1]
	v_add_f64 v[42:43], v[10:11], v[2:3]
	v_add_f64 v[44:45], v[8:9], -v[0:1]
	v_add_f64 v[46:47], v[10:11], -v[2:3]
	ds_load_b128 v[0:3], v252 offset:2992
	ds_load_b128 v[8:11], v252 offset:7072
	v_add_f64 v[163:164], v[26:27], -v[36:37]
	v_add_f64 v[167:168], v[30:31], -v[32:33]
	s_waitcnt lgkmcnt(0)
	v_add_f64 v[62:63], v[0:1], v[8:9]
	v_add_f64 v[60:61], v[2:3], v[10:11]
	v_add_f64 v[58:59], v[0:1], -v[8:9]
	v_add_f64 v[56:57], v[2:3], -v[10:11]
	ds_load_b128 v[0:3], v252 offset:5712
	ds_load_b128 v[8:11], v252 offset:4352
	s_waitcnt lgkmcnt(0)
	v_add_f64 v[48:49], v[8:9], v[0:1]
	v_add_f64 v[50:51], v[10:11], v[2:3]
	v_add_f64 v[52:53], v[0:1], -v[8:9]
	v_add_f64 v[54:55], v[2:3], -v[10:11]
	ds_load_b128 v[0:3], v252 offset:1904
	ds_load_b128 v[8:11], v252 offset:8704
	v_mul_f64 v[167:168], v[167:168], s[20:21]
	s_waitcnt lgkmcnt(0)
	v_add_f64 v[64:65], v[0:1], v[8:9]
	v_add_f64 v[66:67], v[2:3], v[10:11]
	v_add_f64 v[68:69], v[0:1], -v[8:9]
	v_add_f64 v[70:71], v[2:3], -v[10:11]
	ds_load_b128 v[0:3], v252 offset:7344
	ds_load_b128 v[8:11], v252 offset:3264
	s_waitcnt lgkmcnt(0)
	v_add_f64 v[86:87], v[8:9], v[0:1]
	v_add_f64 v[84:85], v[10:11], v[2:3]
	v_add_f64 v[82:83], v[8:9], -v[0:1]
	v_add_f64 v[80:81], v[10:11], -v[2:3]
	ds_load_b128 v[0:3], v252 offset:4624
	ds_load_b128 v[8:11], v252 offset:5984
	;; [unrolled: 7-line block ×8, first 2 shown]
	s_waitcnt lgkmcnt(0)
	v_add_f64 v[120:121], v[8:9], v[0:1]
	v_add_f64 v[124:125], v[0:1], -v[8:9]
	v_add_f64 v[0:1], v[38:39], v[4:5]
	v_add_f64 v[122:123], v[10:11], v[2:3]
	v_add_f64 v[126:127], v[2:3], -v[10:11]
	v_add_f64 v[8:9], v[134:135], v[112:113]
	s_delay_alu instid0(VALU_DEP_4)
	v_add_f64 v[157:158], v[24:25], v[0:1]
	v_add_f64 v[0:1], v[36:37], v[6:7]
	;; [unrolled: 1-line block ×3, first 2 shown]
	v_add_f64 v[6:7], v[6:7], -v[26:27]
	v_add_f64 v[136:137], v[120:121], v[8:9]
	v_add_f64 v[8:9], v[132:133], v[114:115]
	;; [unrolled: 1-line block ×3, first 2 shown]
	ds_load_b128 v[0:3], v252
	v_add_f64 v[171:172], v[36:37], v[20:21]
	v_mul_f64 v[6:7], v[6:7], s[24:25]
	v_add_f64 v[138:139], v[122:123], v[8:9]
	ds_load_b128 v[8:11], v252 offset:1088
	s_waitcnt lgkmcnt(1)
	v_add_f64 v[153:154], v[0:1], v[157:158]
	v_add_f64 v[0:1], v[62:63], v[40:41]
	s_waitcnt lgkmcnt(0)
	v_add_f64 v[8:9], v[8:9], v[136:137]
	v_add_f64 v[155:156], v[2:3], v[159:160]
	v_fma_f64 v[26:27], v[161:162], s[26:27], -v[6:7]
	v_fma_f64 v[6:7], v[163:164], s[2:3], v[6:7]
	v_add_f64 v[10:11], v[10:11], v[138:139]
	v_fma_f64 v[157:158], v[157:158], s[16:17], v[153:154]
	v_add_f64 v[148:149], v[48:49], v[0:1]
	v_add_f64 v[0:1], v[60:61], v[42:43]
	v_fma_f64 v[136:137], v[136:137], s[16:17], v[8:9]
	v_fma_f64 v[159:160], v[159:160], s[16:17], v[155:156]
	;; [unrolled: 1-line block ×3, first 2 shown]
	s_delay_alu instid0(VALU_DEP_4)
	v_add_f64 v[150:151], v[50:51], v[0:1]
	ds_load_b128 v[0:3], v252 offset:272
	v_add_f64 v[26:27], v[26:27], v[159:160]
	v_add_f64 v[6:7], v[6:7], v[159:160]
	s_waitcnt lgkmcnt(0)
	v_add_f64 v[16:17], v[0:1], v[148:149]
	v_add_f64 v[0:1], v[86:87], v[64:65]
	;; [unrolled: 1-line block ×3, first 2 shown]
	s_delay_alu instid0(VALU_DEP_3) | instskip(NEXT) | instid1(VALU_DEP_3)
	v_fma_f64 v[148:149], v[148:149], s[16:17], v[16:17]
	v_add_f64 v[144:145], v[72:73], v[0:1]
	v_add_f64 v[0:1], v[84:85], v[66:67]
	s_delay_alu instid0(VALU_DEP_4) | instskip(NEXT) | instid1(VALU_DEP_2)
	v_fma_f64 v[150:151], v[150:151], s[16:17], v[18:19]
	v_add_f64 v[146:147], v[74:75], v[0:1]
	ds_load_b128 v[0:3], v252 offset:544
	s_waitcnt lgkmcnt(0)
	v_add_f64 v[12:13], v[0:1], v[144:145]
	v_add_f64 v[0:1], v[110:111], v[88:89]
	;; [unrolled: 1-line block ×3, first 2 shown]
	s_delay_alu instid0(VALU_DEP_3) | instskip(NEXT) | instid1(VALU_DEP_3)
	v_fma_f64 v[144:145], v[144:145], s[16:17], v[12:13]
	v_add_f64 v[140:141], v[96:97], v[0:1]
	v_add_f64 v[0:1], v[108:109], v[90:91]
	s_delay_alu instid0(VALU_DEP_4) | instskip(NEXT) | instid1(VALU_DEP_2)
	v_fma_f64 v[146:147], v[146:147], s[16:17], v[14:15]
	v_add_f64 v[142:143], v[98:99], v[0:1]
	ds_load_b128 v[0:3], v252 offset:816
	s_waitcnt lgkmcnt(0)
	s_barrier
	buffer_gl0_inv
	ds_store_b128 v182, v[153:156]
	v_add_f64 v[153:154], v[38:39], -v[4:5]
	v_add_f64 v[155:156], v[24:25], -v[38:39]
	;; [unrolled: 1-line block ×3, first 2 shown]
	v_add_f64 v[34:35], v[30:31], v[32:33]
	v_add_f64 v[4:5], v[4:5], -v[24:25]
	v_add_f64 v[28:29], v[20:21], -v[28:29]
	v_mul_f64 v[20:21], v[165:166], s[14:15]
	v_add_f64 v[30:31], v[22:23], -v[30:31]
	v_add_f64 v[0:1], v[0:1], v[140:141]
	v_add_f64 v[2:3], v[2:3], v[142:143]
	v_mul_f64 v[32:33], v[155:156], s[2:3]
	v_mul_f64 v[175:176], v[38:39], s[20:21]
	v_add_f64 v[173:174], v[34:35], v[22:23]
	v_mul_f64 v[22:23], v[169:170], s[14:15]
	v_mul_f64 v[4:5], v[4:5], s[24:25]
	v_fma_f64 v[20:21], v[28:29], s[28:29], -v[20:21]
	v_mul_f64 v[34:35], v[163:164], s[2:3]
	v_add_f64 v[163:164], v[54:55], -v[56:57]
	v_fma_f64 v[140:141], v[140:141], s[16:17], v[0:1]
	v_fma_f64 v[142:143], v[142:143], s[16:17], v[2:3]
	v_fma_f64 v[32:33], v[153:154], s[18:19], -v[32:33]
	v_fma_f64 v[28:29], v[28:29], s[22:23], v[175:176]
	v_fma_f64 v[36:37], v[165:166], s[14:15], -v[175:176]
	v_fma_f64 v[22:23], v[30:31], s[28:29], -v[22:23]
	;; [unrolled: 1-line block ×3, first 2 shown]
	v_fma_f64 v[153:154], v[171:172], s[12:13], v[20:21]
	v_fma_f64 v[30:31], v[30:31], s[22:23], v[167:168]
	;; [unrolled: 1-line block ×3, first 2 shown]
	v_fma_f64 v[34:35], v[161:162], s[18:19], -v[34:35]
	v_add_f64 v[165:166], v[56:57], -v[46:47]
	v_mul_f64 v[163:164], v[163:164], s[20:21]
	v_add_f64 v[177:178], v[32:33], v[157:158]
	v_fma_f64 v[155:156], v[171:172], s[12:13], v[28:29]
	v_fma_f64 v[38:39], v[171:172], s[12:13], v[36:37]
	;; [unrolled: 1-line block ×3, first 2 shown]
	v_add_f64 v[24:25], v[24:25], v[157:158]
	v_add_f64 v[22:23], v[26:27], -v[153:154]
	v_add_f64 v[26:27], v[153:154], v[26:27]
	v_fma_f64 v[153:154], v[173:174], s[12:13], v[30:31]
	v_add_f64 v[4:5], v[4:5], v[157:158]
	v_add_f64 v[179:180], v[34:35], v[159:160]
	v_add_f64 v[157:158], v[60:61], -v[42:43]
	v_add_f64 v[159:160], v[50:51], -v[60:61]
	v_add_f64 v[60:61], v[52:53], v[58:59]
	v_fma_f64 v[36:37], v[169:170], s[14:15], -v[167:168]
	v_add_f64 v[42:43], v[42:43], -v[50:51]
	v_add_f64 v[50:51], v[46:47], -v[54:55]
	;; [unrolled: 1-line block ×3, first 2 shown]
	v_add_f64 v[155:156], v[155:156], v[6:7]
	v_add_f64 v[6:7], v[48:49], -v[62:63]
	v_add_f64 v[20:21], v[24:25], v[161:162]
	v_add_f64 v[24:25], v[24:25], -v[161:162]
	v_add_f64 v[161:162], v[58:59], -v[44:45]
	v_add_f64 v[28:29], v[4:5], v[153:154]
	v_add_f64 v[153:154], v[4:5], -v[153:154]
	v_add_f64 v[4:5], v[62:63], -v[40:41]
	;; [unrolled: 1-line block ×3, first 2 shown]
	v_add_f64 v[58:59], v[54:55], v[56:57]
	v_add_f64 v[40:41], v[40:41], -v[48:49]
	v_add_f64 v[48:49], v[44:45], -v[52:53]
	v_add_f64 v[167:168], v[60:61], v[44:45]
	v_mul_f64 v[54:55], v[42:43], s[24:25]
	v_fma_f64 v[36:37], v[173:174], s[12:13], v[36:37]
	v_add_f64 v[34:35], v[38:39], v[179:180]
	v_add_f64 v[38:39], v[179:180], -v[38:39]
	v_mul_f64 v[56:57], v[6:7], s[2:3]
	v_mul_f64 v[44:45], v[161:162], s[14:15]
	;; [unrolled: 1-line block ×3, first 2 shown]
	v_add_f64 v[169:170], v[58:59], v[46:47]
	v_mul_f64 v[46:47], v[165:166], s[14:15]
	v_mul_f64 v[52:53], v[40:41], s[24:25]
	;; [unrolled: 1-line block ×3, first 2 shown]
	v_add_f64 v[32:33], v[177:178], -v[36:37]
	v_add_f64 v[36:37], v[177:178], v[36:37]
	ds_store_b128 v182, v[28:31] offset:16
	ds_store_b128 v182, v[20:23] offset:32
	;; [unrolled: 1-line block ×5, first 2 shown]
	v_fma_f64 v[56:57], v[4:5], s[18:19], -v[56:57]
	v_fma_f64 v[42:43], v[50:51], s[28:29], -v[46:47]
	;; [unrolled: 1-line block ×7, first 2 shown]
	v_fma_f64 v[6:7], v[6:7], s[2:3], v[52:53]
	scratch_store_b32 off, v182, off offset:1360 ; 4-byte Folded Spill
	ds_store_b128 v182, v[153:156] offset:96
                                        ; implicit-def: $vgpr36_vgpr37
                                        ; implicit-def: $vgpr24_vgpr25
                                        ; implicit-def: $vgpr28_vgpr29
	v_add_f64 v[173:174], v[56:57], v[148:149]
	v_fma_f64 v[157:158], v[169:170], s[12:13], v[42:43]
	v_add_f64 v[4:5], v[4:5], v[148:149]
	v_add_f64 v[175:176], v[58:59], v[150:151]
	v_fma_f64 v[46:47], v[167:168], s[12:13], v[40:41]
	v_add_f64 v[161:162], v[44:45], v[150:151]
	v_fma_f64 v[62:63], v[167:168], s[12:13], v[60:61]
	v_add_f64 v[6:7], v[6:7], v[148:149]
	v_add_f64 v[148:149], v[84:85], -v[66:67]
	v_fma_f64 v[60:61], v[165:166], s[14:15], -v[163:164]
	v_add_f64 v[66:67], v[66:67], -v[74:75]
	v_add_f64 v[40:41], v[4:5], v[157:158]
	v_add_f64 v[44:45], v[4:5], -v[157:158]
	v_fma_f64 v[4:5], v[48:49], s[22:23], v[171:172]
	v_fma_f64 v[48:49], v[50:51], s[22:23], v[163:164]
	;; [unrolled: 1-line block ×3, first 2 shown]
	v_add_f64 v[42:43], v[161:162], -v[46:47]
	v_add_f64 v[46:47], v[46:47], v[161:162]
	v_add_f64 v[157:158], v[82:83], -v[68:69]
	v_add_f64 v[161:162], v[80:81], -v[70:71]
	;; [unrolled: 1-line block ×3, first 2 shown]
	v_fma_f64 v[60:61], v[169:170], s[12:13], v[60:61]
	v_add_f64 v[58:59], v[62:63], v[175:176]
	v_add_f64 v[62:63], v[175:176], -v[62:63]
	v_fma_f64 v[4:5], v[167:168], s[12:13], v[4:5]
	v_fma_f64 v[52:53], v[169:170], s[12:13], v[48:49]
	v_add_f64 v[54:55], v[50:51], v[150:151]
	v_add_f64 v[150:151], v[74:75], -v[84:85]
	v_add_f64 v[84:85], v[76:77], v[82:83]
	v_add_f64 v[74:75], v[70:71], -v[78:79]
	v_mul_f64 v[159:160], v[159:160], s[20:21]
	v_add_f64 v[56:57], v[173:174], -v[60:61]
	v_add_f64 v[60:61], v[173:174], v[60:61]
	v_add_f64 v[48:49], v[6:7], v[52:53]
	v_add_f64 v[50:51], v[54:55], -v[4:5]
	v_add_f64 v[52:53], v[6:7], -v[52:53]
	v_add_f64 v[54:55], v[4:5], v[54:55]
	v_add_f64 v[4:5], v[86:87], -v[64:65]
	v_add_f64 v[6:7], v[72:73], -v[86:87]
	;; [unrolled: 1-line block ×3, first 2 shown]
	v_add_f64 v[82:83], v[78:79], v[80:81]
	v_add_f64 v[64:65], v[64:65], -v[72:73]
	v_add_f64 v[72:73], v[68:69], -v[76:77]
	v_add_f64 v[163:164], v[84:85], v[68:69]
	v_mul_f64 v[68:69], v[157:158], s[14:15]
	v_mul_f64 v[78:79], v[66:67], s[24:25]
	v_mul_f64 v[80:81], v[6:7], s[2:3]
	v_mul_f64 v[167:168], v[86:87], s[20:21]
	v_add_f64 v[165:166], v[82:83], v[70:71]
	v_mul_f64 v[70:71], v[161:162], s[14:15]
	v_mul_f64 v[76:77], v[64:65], s[24:25]
	;; [unrolled: 1-line block ×3, first 2 shown]
	v_fma_f64 v[64:65], v[72:73], s[28:29], -v[68:69]
	v_fma_f64 v[68:69], v[148:149], s[26:27], -v[78:79]
	;; [unrolled: 1-line block ×7, first 2 shown]
	v_fma_f64 v[70:71], v[163:164], s[12:13], v[64:65]
	v_add_f64 v[157:158], v[68:69], v[146:147]
	v_fma_f64 v[6:7], v[6:7], s[2:3], v[76:77]
	v_add_f64 v[169:170], v[80:81], v[144:145]
	v_fma_f64 v[86:87], v[163:164], s[12:13], v[84:85]
	v_fma_f64 v[84:85], v[161:162], s[14:15], -v[159:160]
	v_fma_f64 v[148:149], v[165:166], s[12:13], v[66:67]
	v_add_f64 v[4:5], v[4:5], v[144:145]
	v_add_f64 v[171:172], v[82:83], v[146:147]
	v_add_f64 v[66:67], v[157:158], -v[70:71]
	v_add_f64 v[6:7], v[6:7], v[144:145]
	v_add_f64 v[70:71], v[70:71], v[157:158]
	v_add_f64 v[144:145], v[108:109], -v[90:91]
	v_add_f64 v[157:158], v[104:105], -v[94:95]
	v_add_f64 v[90:91], v[90:91], -v[98:99]
	v_fma_f64 v[84:85], v[165:166], s[12:13], v[84:85]
	v_add_f64 v[64:65], v[4:5], v[148:149]
	v_add_f64 v[68:69], v[4:5], -v[148:149]
	v_fma_f64 v[4:5], v[72:73], s[22:23], v[167:168]
	v_fma_f64 v[72:73], v[74:75], s[22:23], v[159:160]
	;; [unrolled: 1-line block ×3, first 2 shown]
	v_add_f64 v[148:149], v[106:107], -v[92:93]
	v_add_f64 v[150:151], v[102:103], -v[104:105]
	v_add_f64 v[82:83], v[86:87], v[171:172]
	v_add_f64 v[86:87], v[171:172], -v[86:87]
	v_add_f64 v[80:81], v[169:170], -v[84:85]
	v_add_f64 v[84:85], v[169:170], v[84:85]
	v_fma_f64 v[4:5], v[163:164], s[12:13], v[4:5]
	v_fma_f64 v[76:77], v[165:166], s[12:13], v[72:73]
	v_add_f64 v[78:79], v[74:75], v[146:147]
	v_add_f64 v[146:147], v[98:99], -v[108:109]
	v_add_f64 v[108:109], v[100:101], v[106:107]
	v_add_f64 v[98:99], v[94:95], -v[102:103]
	v_mul_f64 v[150:151], v[150:151], s[20:21]
	v_add_f64 v[72:73], v[6:7], v[76:77]
	v_add_f64 v[74:75], v[78:79], -v[4:5]
	v_add_f64 v[76:77], v[6:7], -v[76:77]
	v_add_f64 v[78:79], v[4:5], v[78:79]
	v_add_f64 v[4:5], v[110:111], -v[88:89]
	v_add_f64 v[6:7], v[96:97], -v[110:111]
	;; [unrolled: 1-line block ×3, first 2 shown]
	v_add_f64 v[106:107], v[102:103], v[104:105]
	v_add_f64 v[88:89], v[88:89], -v[96:97]
	v_add_f64 v[96:97], v[92:93], -v[100:101]
	v_add_f64 v[159:160], v[108:109], v[92:93]
	v_mul_f64 v[92:93], v[148:149], s[14:15]
	v_mul_f64 v[102:103], v[90:91], s[24:25]
	;; [unrolled: 1-line block ×4, first 2 shown]
	v_add_f64 v[161:162], v[106:107], v[94:95]
	v_mul_f64 v[94:95], v[157:158], s[14:15]
	v_mul_f64 v[100:101], v[88:89], s[24:25]
	;; [unrolled: 1-line block ×3, first 2 shown]
	v_fma_f64 v[88:89], v[96:97], s[28:29], -v[92:93]
	v_fma_f64 v[92:93], v[144:145], s[26:27], -v[102:103]
	;; [unrolled: 1-line block ×7, first 2 shown]
	v_fma_f64 v[94:95], v[159:160], s[12:13], v[88:89]
	v_add_f64 v[148:149], v[92:93], v[142:143]
	v_fma_f64 v[6:7], v[6:7], s[2:3], v[100:101]
	v_add_f64 v[165:166], v[104:105], v[140:141]
	v_fma_f64 v[110:111], v[159:160], s[12:13], v[108:109]
	v_fma_f64 v[108:109], v[157:158], s[14:15], -v[150:151]
	v_fma_f64 v[144:145], v[161:162], s[12:13], v[90:91]
	v_add_f64 v[4:5], v[4:5], v[140:141]
	v_add_f64 v[167:168], v[106:107], v[142:143]
	v_add_f64 v[90:91], v[148:149], -v[94:95]
	v_add_f64 v[6:7], v[6:7], v[140:141]
	v_add_f64 v[94:95], v[94:95], v[148:149]
	v_add_f64 v[140:141], v[132:133], -v[114:115]
	v_add_f64 v[148:149], v[128:129], -v[118:119]
	;; [unrolled: 1-line block ×3, first 2 shown]
	v_fma_f64 v[108:109], v[161:162], s[12:13], v[108:109]
	v_add_f64 v[88:89], v[4:5], v[144:145]
	v_add_f64 v[92:93], v[4:5], -v[144:145]
	v_fma_f64 v[4:5], v[96:97], s[22:23], v[163:164]
	v_fma_f64 v[96:97], v[98:99], s[22:23], v[150:151]
	;; [unrolled: 1-line block ×3, first 2 shown]
	v_add_f64 v[144:145], v[130:131], -v[116:117]
	v_add_f64 v[146:147], v[126:127], -v[128:129]
	v_add_f64 v[106:107], v[110:111], v[167:168]
	v_add_f64 v[110:111], v[167:168], -v[110:111]
	v_add_f64 v[104:105], v[165:166], -v[108:109]
	v_add_f64 v[108:109], v[165:166], v[108:109]
	v_fma_f64 v[4:5], v[159:160], s[12:13], v[4:5]
	v_fma_f64 v[100:101], v[161:162], s[12:13], v[96:97]
	v_add_f64 v[102:103], v[98:99], v[142:143]
	v_add_f64 v[142:143], v[122:123], -v[132:133]
	v_add_f64 v[132:133], v[124:125], v[130:131]
	v_add_f64 v[122:123], v[118:119], -v[126:127]
	v_mul_f64 v[146:147], v[146:147], s[20:21]
	v_add_f64 v[96:97], v[6:7], v[100:101]
	v_add_f64 v[98:99], v[102:103], -v[4:5]
	v_add_f64 v[100:101], v[6:7], -v[100:101]
	v_add_f64 v[102:103], v[4:5], v[102:103]
	v_add_f64 v[4:5], v[134:135], -v[112:113]
	v_add_f64 v[6:7], v[120:121], -v[134:135]
	v_add_f64 v[134:135], v[124:125], -v[130:131]
	v_add_f64 v[130:131], v[126:127], v[128:129]
	v_add_f64 v[112:113], v[112:113], -v[120:121]
	v_add_f64 v[120:121], v[116:117], -v[124:125]
	v_add_f64 v[150:151], v[132:133], v[116:117]
	v_mul_f64 v[116:117], v[144:145], s[14:15]
	v_mul_f64 v[126:127], v[114:115], s[24:25]
	;; [unrolled: 1-line block ×4, first 2 shown]
	v_add_f64 v[157:158], v[130:131], v[118:119]
	v_mul_f64 v[118:119], v[148:149], s[14:15]
	v_mul_f64 v[124:125], v[112:113], s[24:25]
	;; [unrolled: 1-line block ×3, first 2 shown]
	v_fma_f64 v[112:113], v[120:121], s[28:29], -v[116:117]
	v_fma_f64 v[116:117], v[140:141], s[26:27], -v[126:127]
	;; [unrolled: 1-line block ×7, first 2 shown]
	v_fma_f64 v[118:119], v[150:151], s[12:13], v[112:113]
	v_add_f64 v[144:145], v[116:117], v[138:139]
	v_add_f64 v[161:162], v[128:129], v[136:137]
	v_fma_f64 v[134:135], v[150:151], s[12:13], v[132:133]
	v_fma_f64 v[132:133], v[148:149], s[14:15], -v[146:147]
	v_fma_f64 v[140:141], v[157:158], s[12:13], v[114:115]
	v_add_f64 v[4:5], v[4:5], v[136:137]
	v_add_f64 v[163:164], v[130:131], v[138:139]
	v_add_f64 v[114:115], v[144:145], -v[118:119]
	v_add_f64 v[118:119], v[118:119], v[144:145]
	v_fma_f64 v[132:133], v[157:158], s[12:13], v[132:133]
	v_add_f64 v[112:113], v[4:5], v[140:141]
	v_add_f64 v[116:117], v[4:5], -v[140:141]
	v_fma_f64 v[4:5], v[6:7], s[2:3], v[124:125]
	v_fma_f64 v[6:7], v[120:121], s[22:23], v[159:160]
	v_fma_f64 v[120:121], v[122:123], s[22:23], v[146:147]
	v_fma_f64 v[122:123], v[142:143], s[2:3], v[126:127]
	v_add_co_u32 v253, s2, v181, 17
	v_add_f64 v[130:131], v[134:135], v[163:164]
	v_add_f64 v[134:135], v[163:164], -v[134:135]
	v_add_f64 v[128:129], v[161:162], -v[132:133]
	v_add_f64 v[132:133], v[161:162], v[132:133]
	v_add_f64 v[4:5], v[4:5], v[136:137]
	v_fma_f64 v[6:7], v[150:151], s[12:13], v[6:7]
	v_fma_f64 v[124:125], v[157:158], s[12:13], v[120:121]
	v_add_f64 v[126:127], v[122:123], v[138:139]
	s_delay_alu instid0(VALU_DEP_2) | instskip(SKIP_2) | instid1(VALU_DEP_4)
	v_add_f64 v[120:121], v[4:5], v[124:125]
	v_add_f64 v[228:229], v[4:5], -v[124:125]
	v_mul_u32_u24_e32 v4, 7, v253
	v_add_f64 v[230:231], v[6:7], v[126:127]
	v_add_f64 v[122:123], v[126:127], -v[6:7]
	s_delay_alu instid0(VALU_DEP_3)
	v_lshl_add_u32 v4, v4, 4, v208
	ds_store_b128 v4, v[16:19]
	ds_store_b128 v4, v[48:51] offset:16
	ds_store_b128 v4, v[40:43] offset:32
	;; [unrolled: 1-line block ×5, first 2 shown]
	scratch_store_b32 off, v4, off offset:1672 ; 4-byte Folded Spill
	ds_store_b128 v4, v[52:55] offset:96
	v_mul_u32_u24_e32 v4, 7, v218
                                        ; implicit-def: $vgpr52_vgpr53
                                        ; implicit-def: $vgpr44_vgpr45
                                        ; implicit-def: $vgpr60_vgpr61
                                        ; implicit-def: $vgpr16_vgpr17
                                        ; implicit-def: $vgpr40_vgpr41
                                        ; implicit-def: $vgpr56_vgpr57
                                        ; implicit-def: $vgpr48_vgpr49
	s_delay_alu instid0(VALU_DEP_1)
	v_lshl_add_u32 v4, v4, 4, v208
	ds_store_b128 v4, v[12:15]
	ds_store_b128 v4, v[72:75] offset:16
	ds_store_b128 v4, v[64:67] offset:32
	;; [unrolled: 1-line block ×5, first 2 shown]
	scratch_store_b32 off, v4, off offset:1600 ; 4-byte Folded Spill
	ds_store_b128 v4, v[76:79] offset:96
	v_add_co_u32 v4, null, v181, 51
                                        ; implicit-def: $vgpr12_vgpr13
                                        ; implicit-def: $vgpr64_vgpr65
	scratch_store_b32 off, v4, off offset:1040 ; 4-byte Folded Spill
	v_mul_u32_u24_e32 v4, 7, v4
	s_delay_alu instid0(VALU_DEP_1)
	v_lshl_add_u32 v4, v4, 4, v208
	ds_store_b128 v4, v[0:3]
	ds_store_b128 v4, v[96:99] offset:16
	ds_store_b128 v4, v[88:91] offset:32
	;; [unrolled: 1-line block ×5, first 2 shown]
	v_add_co_u32 v0, null, 0x44, v181
	s_clause 0x1
	scratch_store_b32 off, v181, off
	scratch_store_b32 off, v4, off offset:1576
	ds_store_b128 v4, v[100:103] offset:96
	scratch_store_b32 off, v0, off offset:1104 ; 4-byte Folded Spill
	v_mul_u32_u24_e32 v0, 7, v0
                                        ; implicit-def: $vgpr108_vgpr109
	s_delay_alu instid0(VALU_DEP_1)
	v_lshl_add_u32 v1, v0, 4, v208
	v_add_co_ci_u32_e64 v0, null, 0, 0, s2
	ds_store_b128 v1, v[8:11]
	ds_store_b128 v1, v[120:123] offset:16
	ds_store_b128 v1, v[112:115] offset:32
	;; [unrolled: 1-line block ×5, first 2 shown]
	scratch_store_b32 off, v1, off offset:1568 ; 4-byte Folded Spill
	ds_store_b128 v1, v[228:231] offset:96
	s_waitcnt lgkmcnt(0)
	s_waitcnt_vscnt null, 0x0
	s_barrier
	buffer_gl0_inv
	ds_load_b128 v[8:11], v252
	ds_load_b128 v[32:35], v252 offset:272
	ds_load_b128 v[88:91], v252 offset:560
	ds_load_b128 v[196:199], v252 offset:832
	ds_load_b128 v[92:95], v252 offset:1120
	ds_load_b128 v[192:195], v252 offset:1392
	ds_load_b128 v[96:99], v252 offset:1680
	ds_load_b128 v[20:23], v252 offset:1952
	ds_load_b128 v[104:107], v252 offset:2240
	ds_load_b128 v[128:131], v252 offset:2512
	ds_load_b128 v[100:103], v252 offset:2800
	ds_load_b128 v[132:135], v252 offset:3072
	ds_load_b128 v[84:87], v252 offset:3360
	ds_load_b128 v[136:139], v252 offset:3632
	ds_load_b128 v[76:79], v252 offset:3920
	ds_load_b128 v[140:143], v252 offset:4192
	ds_load_b128 v[68:71], v252 offset:4480
	ds_load_b128 v[144:147], v252 offset:4752
	ds_load_b128 v[80:83], v252 offset:5040
	ds_load_b128 v[156:159], v252 offset:5312
	ds_load_b128 v[0:3], v252 offset:5600
	ds_load_b128 v[148:151], v252 offset:5872
	ds_load_b128 v[200:203], v252 offset:6160
	ds_load_b128 v[152:155], v252 offset:6432
	ds_load_b128 v[204:207], v252 offset:6720
	ds_load_b128 v[160:163], v252 offset:6992
	ds_load_b128 v[72:75], v252 offset:7280
	ds_load_b128 v[172:175], v252 offset:7552
	ds_load_b128 v[184:187], v252 offset:7840
	ds_load_b128 v[168:171], v252 offset:8112
	ds_load_b128 v[180:183], v252 offset:8400
	ds_load_b128 v[164:167], v252 offset:8672
	ds_load_b128 v[188:191], v252 offset:8960
	ds_load_b128 v[124:127], v252 offset:9232
	s_load_b64 s[2:3], s[0:1], 0x38
                                        ; implicit-def: $vgpr120_vgpr121
                                        ; implicit-def: $vgpr116_vgpr117
                                        ; implicit-def: $vgpr112_vgpr113
	s_and_saveexec_b32 s0, vcc_lo
	s_cbranch_execz .LBB0_3
; %bb.2:
	ds_load_b128 v[228:231], v208 offset:544
	ds_load_b128 v[36:39], v208 offset:1104
	;; [unrolled: 1-line block ×17, first 2 shown]
.LBB0_3:
	s_or_b32 exec_lo, exec_lo, s0
	scratch_load_b32 v6, off, off           ; 4-byte Folded Reload
	s_mov_b32 s40, 0x2a9d6da3
	s_mov_b32 s41, 0xbfe58eea
	;; [unrolled: 1-line block ×48, first 2 shown]
	scratch_store_b32 off, v208, off offset:4 ; 4-byte Folded Spill
	s_waitcnt vmcnt(0)
	v_and_b32_e32 v4, 0xff, v6
	s_delay_alu instid0(VALU_DEP_1) | instskip(NEXT) | instid1(VALU_DEP_1)
	v_mul_lo_u16 v4, v4, 37
	v_lshrrev_b16 v4, 8, v4
	s_delay_alu instid0(VALU_DEP_1) | instskip(NEXT) | instid1(VALU_DEP_1)
	v_sub_nc_u16 v5, v6, v4
	v_lshrrev_b16 v5, 1, v5
	s_delay_alu instid0(VALU_DEP_1) | instskip(NEXT) | instid1(VALU_DEP_1)
	v_and_b32_e32 v5, 0x7f, v5
	v_add_nc_u16 v4, v5, v4
	s_delay_alu instid0(VALU_DEP_1) | instskip(SKIP_2) | instid1(VALU_DEP_1)
	v_lshrrev_b16 v4, 2, v4
	scratch_store_b32 off, v4, off offset:1036 ; 4-byte Folded Spill
	v_mul_lo_u16 v4, v4, 7
	v_sub_nc_u16 v4, v6, v4
	s_delay_alu instid0(VALU_DEP_1)
	v_and_b32_e32 v4, 0xff, v4
	scratch_store_b32 off, v4, off offset:1072 ; 4-byte Folded Spill
	v_lshlrev_b32_e32 v4, 8, v4
	s_clause 0x1
	global_load_b128 v[209:212], v4, s[10:11]
	global_load_b128 v[214:217], v4, s[10:11] offset:16
	s_waitcnt vmcnt(1) lgkmcnt(0)
	v_mul_f64 v[176:177], v[90:91], v[211:212]
	scratch_store_b128 off, v[209:212], off offset:1584 ; 16-byte Folded Spill
	v_fma_f64 v[176:177], v[88:89], v[209:210], -v[176:177]
	v_mul_f64 v[88:89], v[88:89], v[211:212]
	s_delay_alu instid0(VALU_DEP_1) | instskip(SKIP_2) | instid1(VALU_DEP_1)
	v_fma_f64 v[212:213], v[90:91], v[209:210], v[88:89]
	s_waitcnt vmcnt(0)
	v_mul_f64 v[88:89], v[94:95], v[216:217]
	v_fma_f64 v[238:239], v[92:93], v[214:215], -v[88:89]
	v_mul_f64 v[88:89], v[92:93], v[216:217]
	global_load_b128 v[90:93], v4, s[10:11] offset:32
	v_fma_f64 v[226:227], v[94:95], v[214:215], v[88:89]
	s_waitcnt vmcnt(0)
	v_mul_f64 v[88:89], v[98:99], v[92:93]
	scratch_store_b128 off, v[90:93], off offset:1840 ; 16-byte Folded Spill
	v_fma_f64 v[210:211], v[96:97], v[90:91], -v[88:89]
	v_mul_f64 v[88:89], v[96:97], v[92:93]
	global_load_b128 v[92:95], v4, s[10:11] offset:48
	v_fma_f64 v[254:255], v[98:99], v[90:91], v[88:89]
	s_waitcnt vmcnt(0)
	v_mul_f64 v[88:89], v[106:107], v[94:95]
	v_mul_f64 v[90:91], v[104:105], v[94:95]
	s_delay_alu instid0(VALU_DEP_2) | instskip(NEXT) | instid1(VALU_DEP_2)
	v_fma_f64 v[6:7], v[104:105], v[92:93], -v[88:89]
	v_fma_f64 v[178:179], v[106:107], v[92:93], v[90:91]
	global_load_b128 v[88:91], v4, s[10:11] offset:64
	scratch_store_b128 off, v[92:95], off offset:1856 ; 16-byte Folded Spill
	s_waitcnt vmcnt(0)
	scratch_store_b128 off, v[88:91], off offset:1888 ; 16-byte Folded Spill
	v_mul_f64 v[92:93], v[102:103], v[90:91]
	v_mul_f64 v[94:95], v[100:101], v[90:91]
	s_delay_alu instid0(VALU_DEP_2) | instskip(NEXT) | instid1(VALU_DEP_2)
	v_fma_f64 v[92:93], v[100:101], v[88:89], -v[92:93]
	v_fma_f64 v[94:95], v[102:103], v[88:89], v[94:95]
	s_clause 0x1
	global_load_b128 v[88:91], v4, s[10:11] offset:80
	global_load_b128 v[100:103], v4, s[10:11] offset:112
	s_waitcnt vmcnt(1)
	v_mul_f64 v[96:97], v[86:87], v[90:91]
	scratch_store_b128 off, v[88:91], off offset:1872 ; 16-byte Folded Spill
	s_waitcnt vmcnt(0)
	scratch_store_b128 off, v[100:103], off offset:1776 ; 16-byte Folded Spill
	v_fma_f64 v[96:97], v[84:85], v[88:89], -v[96:97]
	v_mul_f64 v[84:85], v[84:85], v[90:91]
	s_delay_alu instid0(VALU_DEP_1)
	v_fma_f64 v[98:99], v[86:87], v[88:89], v[84:85]
	global_load_b128 v[86:89], v4, s[10:11] offset:96
	s_waitcnt vmcnt(0)
	v_mul_f64 v[84:85], v[78:79], v[88:89]
	scratch_store_b128 off, v[86:89], off offset:1808 ; 16-byte Folded Spill
	v_fma_f64 v[90:91], v[76:77], v[86:87], -v[84:85]
	v_mul_f64 v[76:77], v[76:77], v[88:89]
	s_delay_alu instid0(VALU_DEP_1) | instskip(SKIP_1) | instid1(VALU_DEP_1)
	v_fma_f64 v[88:89], v[78:79], v[86:87], v[76:77]
	v_mul_f64 v[76:77], v[70:71], v[102:103]
	v_fma_f64 v[86:87], v[68:69], v[100:101], -v[76:77]
	v_mul_f64 v[68:69], v[68:69], v[102:103]
	s_delay_alu instid0(VALU_DEP_1)
	v_fma_f64 v[84:85], v[70:71], v[100:101], v[68:69]
	global_load_b128 v[100:103], v4, s[10:11] offset:128
	s_waitcnt vmcnt(0)
	v_mul_f64 v[68:69], v[82:83], v[102:103]
	v_mul_f64 v[70:71], v[80:81], v[102:103]
	scratch_store_b128 off, v[100:103], off offset:1744 ; 16-byte Folded Spill
	v_fma_f64 v[78:79], v[80:81], v[100:101], -v[68:69]
	v_fma_f64 v[76:77], v[82:83], v[100:101], v[70:71]
	s_clause 0x1
	global_load_b128 v[68:71], v4, s[10:11] offset:144
	global_load_b128 v[100:103], v4, s[10:11] offset:160
	s_waitcnt vmcnt(1)
	v_mul_f64 v[80:81], v[2:3], v[70:71]
	scratch_store_b128 off, v[68:71], off offset:1792 ; 16-byte Folded Spill
	v_fma_f64 v[80:81], v[0:1], v[68:69], -v[80:81]
	v_mul_f64 v[0:1], v[0:1], v[70:71]
	s_delay_alu instid0(VALU_DEP_1) | instskip(SKIP_3) | instid1(VALU_DEP_2)
	v_fma_f64 v[82:83], v[2:3], v[68:69], v[0:1]
	s_waitcnt vmcnt(0)
	v_mul_f64 v[0:1], v[202:203], v[102:103]
	v_mul_f64 v[2:3], v[200:201], v[102:103]
	v_fma_f64 v[70:71], v[200:201], v[100:101], -v[0:1]
	s_delay_alu instid0(VALU_DEP_2)
	v_fma_f64 v[68:69], v[202:203], v[100:101], v[2:3]
	global_load_b128 v[0:3], v4, s[10:11] offset:176
	scratch_store_b128 off, v[100:103], off offset:1728 ; 16-byte Folded Spill
	s_waitcnt vmcnt(0)
	scratch_store_b128 off, v[0:3], off offset:1696 ; 16-byte Folded Spill
	v_mul_f64 v[100:101], v[206:207], v[2:3]
	s_delay_alu instid0(VALU_DEP_1) | instskip(SKIP_1) | instid1(VALU_DEP_1)
	v_fma_f64 v[200:201], v[204:205], v[0:1], -v[100:101]
	v_mul_f64 v[100:101], v[204:205], v[2:3]
	v_fma_f64 v[202:203], v[206:207], v[0:1], v[100:101]
	global_load_b128 v[0:3], v4, s[10:11] offset:192
	s_waitcnt vmcnt(0)
	v_mul_f64 v[100:101], v[74:75], v[2:3]
	scratch_store_b128 off, v[0:3], off offset:1712 ; 16-byte Folded Spill
	v_fma_f64 v[100:101], v[72:73], v[0:1], -v[100:101]
	v_mul_f64 v[72:73], v[72:73], v[2:3]
	s_delay_alu instid0(VALU_DEP_1)
	v_fma_f64 v[102:103], v[74:75], v[0:1], v[72:73]
	global_load_b128 v[0:3], v4, s[10:11] offset:208
	s_waitcnt vmcnt(0)
	v_mul_f64 v[72:73], v[186:187], v[2:3]
	v_mul_f64 v[74:75], v[184:185], v[2:3]
	scratch_store_b128 off, v[0:3], off offset:1760 ; 16-byte Folded Spill
	v_fma_f64 v[72:73], v[184:185], v[0:1], -v[72:73]
	v_fma_f64 v[74:75], v[186:187], v[0:1], v[74:75]
	global_load_b128 v[0:3], v4, s[10:11] offset:224
	s_waitcnt vmcnt(0)
	v_mul_f64 v[104:105], v[182:183], v[2:3]
	scratch_store_b128 off, v[0:3], off offset:1624 ; 16-byte Folded Spill
	v_fma_f64 v[184:185], v[180:181], v[0:1], -v[104:105]
	v_mul_f64 v[104:105], v[180:181], v[2:3]
	s_delay_alu instid0(VALU_DEP_1)
	v_fma_f64 v[186:187], v[182:183], v[0:1], v[104:105]
	global_load_b128 v[0:3], v4, s[10:11] offset:240
	s_waitcnt vmcnt(0)
	v_mul_f64 v[104:105], v[190:191], v[2:3]
	scratch_store_b128 off, v[0:3], off offset:1608 ; 16-byte Folded Spill
	v_fma_f64 v[180:181], v[188:189], v[0:1], -v[104:105]
	v_mul_f64 v[104:105], v[188:189], v[2:3]
	s_delay_alu instid0(VALU_DEP_1) | instskip(SKIP_1) | instid1(VALU_DEP_1)
	v_fma_f64 v[182:183], v[190:191], v[0:1], v[104:105]
	v_and_b32_e32 v0, 0xff, v253
	v_mul_lo_u16 v0, v0, 37
	s_delay_alu instid0(VALU_DEP_1) | instskip(NEXT) | instid1(VALU_DEP_1)
	v_lshrrev_b16 v0, 8, v0
	v_sub_nc_u16 v1, v253, v0
	s_delay_alu instid0(VALU_DEP_1) | instskip(NEXT) | instid1(VALU_DEP_1)
	v_lshrrev_b16 v1, 1, v1
	v_and_b32_e32 v1, 0x7f, v1
	s_delay_alu instid0(VALU_DEP_1) | instskip(NEXT) | instid1(VALU_DEP_1)
	v_add_nc_u16 v0, v1, v0
	v_lshrrev_b16 v0, 2, v0
	scratch_store_b32 off, v0, off offset:1088 ; 4-byte Folded Spill
	v_mul_lo_u16 v0, v0, 7
	s_delay_alu instid0(VALU_DEP_1) | instskip(NEXT) | instid1(VALU_DEP_1)
	v_sub_nc_u16 v0, v253, v0
	v_and_b32_e32 v0, 0xff, v0
	scratch_store_b32 off, v0, off offset:1120 ; 4-byte Folded Spill
	v_lshlrev_b32_e32 v0, 8, v0
	global_load_b128 v[1:4], v0, s[10:11]
	s_waitcnt vmcnt(0)
	v_mul_f64 v[104:105], v[198:199], v[3:4]
	scratch_store_b128 off, v[1:4], off offset:1640 ; 16-byte Folded Spill
	v_fma_f64 v[204:205], v[196:197], v[1:2], -v[104:105]
	v_mul_f64 v[104:105], v[196:197], v[3:4]
	s_delay_alu instid0(VALU_DEP_1)
	v_fma_f64 v[206:207], v[198:199], v[1:2], v[104:105]
	global_load_b128 v[1:4], v0, s[10:11] offset:16
	s_waitcnt vmcnt(0)
	v_mul_f64 v[104:105], v[194:195], v[3:4]
	scratch_store_b128 off, v[1:4], off offset:1680 ; 16-byte Folded Spill
	v_fma_f64 v[190:191], v[192:193], v[1:2], -v[104:105]
	v_mul_f64 v[104:105], v[192:193], v[3:4]
	s_delay_alu instid0(VALU_DEP_1)
	v_fma_f64 v[188:189], v[194:195], v[1:2], v[104:105]
	global_load_b128 v[1:4], v0, s[10:11] offset:32
	;; [unrolled: 8-line block ×3, first 2 shown]
	s_waitcnt vmcnt(0)
	v_mul_f64 v[20:21], v[130:131], v[3:4]
	scratch_store_b128 off, v[1:4], off offset:1344 ; 16-byte Folded Spill
	v_fma_f64 v[20:21], v[128:129], v[1:2], -v[20:21]
	scratch_store_b64 off, v[20:21], off offset:16 ; 8-byte Folded Spill
	v_mul_f64 v[20:21], v[128:129], v[3:4]
	s_delay_alu instid0(VALU_DEP_1)
	v_fma_f64 v[1:2], v[130:131], v[1:2], v[20:21]
	s_clause 0x1
	scratch_store_b128 off, v[214:217], off offset:1824
	scratch_store_b64 off, v[1:2], off offset:32
	global_load_b128 v[1:4], v0, s[10:11] offset:64
	s_waitcnt vmcnt(0)
	v_mul_f64 v[20:21], v[134:135], v[3:4]
	scratch_store_b128 off, v[1:4], off offset:1376 ; 16-byte Folded Spill
	v_fma_f64 v[20:21], v[132:133], v[1:2], -v[20:21]
	scratch_store_b64 off, v[20:21], off offset:48 ; 8-byte Folded Spill
	v_mul_f64 v[20:21], v[132:133], v[3:4]
	s_delay_alu instid0(VALU_DEP_1)
	v_fma_f64 v[1:2], v[134:135], v[1:2], v[20:21]
	scratch_store_b64 off, v[1:2], off offset:64 ; 8-byte Folded Spill
	global_load_b128 v[1:4], v0, s[10:11] offset:80
	s_waitcnt vmcnt(0)
	v_mul_f64 v[20:21], v[138:139], v[3:4]
	scratch_store_b128 off, v[1:4], off offset:1392 ; 16-byte Folded Spill
	v_fma_f64 v[20:21], v[136:137], v[1:2], -v[20:21]
	scratch_store_b64 off, v[20:21], off offset:80 ; 8-byte Folded Spill
	v_mul_f64 v[20:21], v[136:137], v[3:4]
	s_delay_alu instid0(VALU_DEP_1)
	v_fma_f64 v[1:2], v[138:139], v[1:2], v[20:21]
	scratch_store_b64 off, v[1:2], off offset:96 ; 8-byte Folded Spill
	;; [unrolled: 10-line block ×4, first 2 shown]
	global_load_b128 v[1:4], v0, s[10:11] offset:128
	s_waitcnt vmcnt(0)
	v_mul_f64 v[20:21], v[158:159], v[3:4]
	scratch_store_b128 off, v[1:4], off offset:1440 ; 16-byte Folded Spill
	v_fma_f64 v[20:21], v[156:157], v[1:2], -v[20:21]
	scratch_store_b64 off, v[20:21], off offset:176 ; 8-byte Folded Spill
	v_mul_f64 v[20:21], v[156:157], v[3:4]
	v_add_f64 v[156:157], v[98:99], -v[68:69]
	s_delay_alu instid0(VALU_DEP_2)
	v_fma_f64 v[1:2], v[158:159], v[1:2], v[20:21]
	v_add_f64 v[158:159], v[96:97], -v[70:71]
	scratch_store_b64 off, v[1:2], off offset:192 ; 8-byte Folded Spill
	global_load_b128 v[1:4], v0, s[10:11] offset:144
	s_waitcnt vmcnt(0)
	v_mul_f64 v[20:21], v[150:151], v[3:4]
	scratch_store_b128 off, v[1:4], off offset:1488 ; 16-byte Folded Spill
	v_fma_f64 v[20:21], v[148:149], v[1:2], -v[20:21]
	scratch_store_b64 off, v[20:21], off offset:208 ; 8-byte Folded Spill
	v_mul_f64 v[20:21], v[148:149], v[3:4]
	s_delay_alu instid0(VALU_DEP_1)
	v_fma_f64 v[1:2], v[150:151], v[1:2], v[20:21]
	scratch_store_b64 off, v[1:2], off offset:224 ; 8-byte Folded Spill
	global_load_b128 v[1:4], v0, s[10:11] offset:160
	s_waitcnt vmcnt(0)
	v_mul_f64 v[20:21], v[154:155], v[3:4]
	scratch_store_b128 off, v[1:4], off offset:1456 ; 16-byte Folded Spill
	v_fma_f64 v[20:21], v[152:153], v[1:2], -v[20:21]
	scratch_store_b64 off, v[20:21], off offset:240 ; 8-byte Folded Spill
	v_mul_f64 v[20:21], v[152:153], v[3:4]
	s_delay_alu instid0(VALU_DEP_1)
	v_fma_f64 v[1:2], v[154:155], v[1:2], v[20:21]
	scratch_store_b64 off, v[1:2], off offset:256 ; 8-byte Folded Spill
	global_load_b128 v[1:4], v0, s[10:11] offset:176
	s_waitcnt vmcnt(0)
	v_mul_f64 v[20:21], v[162:163], v[3:4]
	scratch_store_b128 off, v[1:4], off offset:1472 ; 16-byte Folded Spill
	v_fma_f64 v[244:245], v[160:161], v[1:2], -v[20:21]
	v_mul_f64 v[20:21], v[160:161], v[3:4]
	s_delay_alu instid0(VALU_DEP_1)
	v_fma_f64 v[246:247], v[162:163], v[1:2], v[20:21]
	global_load_b128 v[1:4], v0, s[10:11] offset:192
	s_waitcnt vmcnt(0)
	v_mul_f64 v[20:21], v[174:175], v[3:4]
	scratch_store_b128 off, v[1:4], off offset:1504 ; 16-byte Folded Spill
	v_fma_f64 v[236:237], v[172:173], v[1:2], -v[20:21]
	v_mul_f64 v[20:21], v[172:173], v[3:4]
	s_delay_alu instid0(VALU_DEP_1)
	v_fma_f64 v[234:235], v[174:175], v[1:2], v[20:21]
	global_load_b128 v[1:4], v0, s[10:11] offset:208
	s_waitcnt vmcnt(0)
	v_mul_f64 v[20:21], v[170:171], v[3:4]
	scratch_store_b128 off, v[1:4], off offset:1552 ; 16-byte Folded Spill
	v_fma_f64 v[132:133], v[168:169], v[1:2], -v[20:21]
	v_mul_f64 v[20:21], v[168:169], v[3:4]
	v_add_f64 v[168:169], v[88:89], -v[82:83]
	s_delay_alu instid0(VALU_DEP_2) | instskip(SKIP_3) | instid1(VALU_DEP_1)
	v_fma_f64 v[128:129], v[170:171], v[1:2], v[20:21]
	global_load_b128 v[1:4], v0, s[10:11] offset:224
	v_mul_f64 v[208:209], v[168:169], s[34:35]
	v_add_f64 v[170:171], v[90:91], -v[80:81]
	v_mul_f64 v[214:215], v[170:171], s[34:35]
	s_waitcnt vmcnt(0)
	v_mul_f64 v[22:23], v[166:167], v[3:4]
	scratch_store_b128 off, v[1:4], off offset:1536 ; 16-byte Folded Spill
	v_fma_f64 v[134:135], v[164:165], v[1:2], -v[22:23]
	v_mul_f64 v[22:23], v[164:165], v[3:4]
	s_delay_alu instid0(VALU_DEP_1)
	v_fma_f64 v[22:23], v[166:167], v[1:2], v[22:23]
	global_load_b128 v[0:3], v0, s[10:11] offset:240
	s_waitcnt vmcnt(0)
	v_mul_f64 v[104:105], v[126:127], v[2:3]
	scratch_store_b128 off, v[0:3], off offset:1520 ; 16-byte Folded Spill
	v_fma_f64 v[136:137], v[124:125], v[0:1], -v[104:105]
	v_mul_f64 v[104:105], v[124:125], v[2:3]
	s_delay_alu instid0(VALU_DEP_1) | instskip(SKIP_1) | instid1(VALU_DEP_1)
	v_fma_f64 v[124:125], v[126:127], v[0:1], v[104:105]
	v_and_b32_e32 v0, 0xff, v218
	v_mul_lo_u16 v0, v0, 37
	s_delay_alu instid0(VALU_DEP_1) | instskip(NEXT) | instid1(VALU_DEP_1)
	v_lshrrev_b16 v0, 8, v0
	v_sub_nc_u16 v1, v218, v0
	s_delay_alu instid0(VALU_DEP_1) | instskip(NEXT) | instid1(VALU_DEP_1)
	v_lshrrev_b16 v1, 1, v1
	v_and_b32_e32 v1, 0x7f, v1
	s_delay_alu instid0(VALU_DEP_1) | instskip(NEXT) | instid1(VALU_DEP_1)
	v_add_nc_u16 v0, v1, v0
	v_lshrrev_b16 v0, 2, v0
	s_delay_alu instid0(VALU_DEP_1) | instskip(NEXT) | instid1(VALU_DEP_1)
	v_mul_lo_u16 v0, v0, 7
	v_sub_nc_u16 v0, v218, v0
	s_clause 0x1
	scratch_store_b32 off, v218, off offset:1056
	scratch_store_b32 off, v0, off offset:1136
	v_lshlrev_b16 v0, 4, v0
	s_delay_alu instid0(VALU_DEP_1) | instskip(NEXT) | instid1(VALU_DEP_1)
	v_and_b32_e32 v0, 0xf0, v0
	v_lshlrev_b32_e32 v0, 4, v0
	global_load_b128 v[1:4], v0, s[10:11]
	s_waitcnt vmcnt(0)
	v_mul_f64 v[104:105], v[38:39], v[3:4]
	scratch_store_b128 off, v[1:4], off offset:2168 ; 16-byte Folded Spill
	v_fma_f64 v[20:21], v[36:37], v[1:2], -v[104:105]
	v_mul_f64 v[36:37], v[36:37], v[3:4]
	s_delay_alu instid0(VALU_DEP_1)
	v_fma_f64 v[242:243], v[38:39], v[1:2], v[36:37]
	global_load_b128 v[1:4], v0, s[10:11] offset:16
	scratch_store_b64 off, v[20:21], off offset:2016 ; 8-byte Folded Spill
	s_waitcnt vmcnt(0)
	scratch_store_b128 off, v[1:4], off offset:2088 ; 16-byte Folded Spill
	v_mul_f64 v[36:37], v[54:55], v[3:4]
	s_delay_alu instid0(VALU_DEP_1) | instskip(SKIP_1) | instid1(VALU_DEP_1)
	v_fma_f64 v[20:21], v[52:53], v[1:2], -v[36:37]
	v_mul_f64 v[36:37], v[52:53], v[3:4]
	v_fma_f64 v[1:2], v[54:55], v[1:2], v[36:37]
	s_clause 0x1
	scratch_store_b64 off, v[20:21], off offset:2024
	scratch_store_b64 off, v[1:2], off offset:2032
	global_load_b128 v[1:4], v0, s[10:11] offset:32
	s_waitcnt vmcnt(0)
	v_mul_f64 v[36:37], v[110:111], v[3:4]
	scratch_store_b128 off, v[1:4], off offset:2136 ; 16-byte Folded Spill
	v_fma_f64 v[20:21], v[108:109], v[1:2], -v[36:37]
	v_mul_f64 v[36:37], v[108:109], v[3:4]
	s_delay_alu instid0(VALU_DEP_1)
	v_fma_f64 v[1:2], v[110:111], v[1:2], v[36:37]
	s_clause 0x1
	scratch_store_b64 off, v[20:21], off offset:272
	scratch_store_b64 off, v[1:2], off offset:8
	global_load_b128 v[1:4], v0, s[10:11] offset:48
	s_waitcnt vmcnt(0)
	v_mul_f64 v[36:37], v[122:123], v[3:4]
	scratch_store_b128 off, v[1:4], off offset:2152 ; 16-byte Folded Spill
	v_fma_f64 v[20:21], v[120:121], v[1:2], -v[36:37]
	v_mul_f64 v[36:37], v[120:121], v[3:4]
	s_delay_alu instid0(VALU_DEP_1)
	v_fma_f64 v[1:2], v[122:123], v[1:2], v[36:37]
	s_clause 0x1
	scratch_store_b64 off, v[20:21], off offset:288
	scratch_store_b64 off, v[1:2], off offset:304
	global_load_b128 v[1:4], v0, s[10:11] offset:64
	s_waitcnt vmcnt(0)
	v_mul_f64 v[36:37], v[26:27], v[3:4]
	scratch_store_b128 off, v[1:4], off offset:2184 ; 16-byte Folded Spill
	v_fma_f64 v[20:21], v[24:25], v[1:2], -v[36:37]
	v_mul_f64 v[24:25], v[24:25], v[3:4]
	v_add_f64 v[36:37], v[176:177], v[180:181]
	s_delay_alu instid0(VALU_DEP_2)
	v_fma_f64 v[1:2], v[26:27], v[1:2], v[24:25]
	s_clause 0x1
	scratch_store_b64 off, v[20:21], off offset:2040
	scratch_store_b64 off, v[1:2], off offset:1280
	global_load_b128 v[1:4], v0, s[10:11] offset:80
	s_waitcnt vmcnt(0)
	v_mul_f64 v[24:25], v[46:47], v[3:4]
	scratch_store_b128 off, v[1:4], off offset:2200 ; 16-byte Folded Spill
	v_fma_f64 v[20:21], v[44:45], v[1:2], -v[24:25]
	v_mul_f64 v[24:25], v[44:45], v[3:4]
	s_delay_alu instid0(VALU_DEP_1)
	v_fma_f64 v[1:2], v[46:47], v[1:2], v[24:25]
	s_clause 0x1
	scratch_store_b64 off, v[20:21], off offset:1912
	scratch_store_b64 off, v[1:2], off offset:1248
	global_load_b128 v[1:4], v0, s[10:11] offset:96
	s_waitcnt vmcnt(0)
	v_mul_f64 v[24:25], v[62:63], v[3:4]
	scratch_store_b128 off, v[1:4], off offset:2216 ; 16-byte Folded Spill
	v_fma_f64 v[20:21], v[60:61], v[1:2], -v[24:25]
	v_mul_f64 v[24:25], v[60:61], v[3:4]
	s_delay_alu instid0(VALU_DEP_1)
	v_fma_f64 v[1:2], v[62:63], v[1:2], v[24:25]
	s_clause 0x1
	scratch_store_b64 off, v[20:21], off offset:1184
	scratch_store_b64 off, v[1:2], off offset:1200
	global_load_b128 v[1:4], v0, s[10:11] offset:112
	s_waitcnt vmcnt(0)
	v_mul_f64 v[24:25], v[118:119], v[3:4]
	scratch_store_b128 off, v[1:4], off offset:2232 ; 16-byte Folded Spill
	v_fma_f64 v[20:21], v[116:117], v[1:2], -v[24:25]
	v_mul_f64 v[24:25], v[116:117], v[3:4]
	scratch_store_b64 off, v[20:21], off offset:1152 ; 8-byte Folded Spill
	v_fma_f64 v[130:131], v[118:119], v[1:2], v[24:25]
	global_load_b128 v[1:4], v0, s[10:11] offset:128
	s_waitcnt vmcnt(0)
	v_mul_f64 v[24:25], v[18:19], v[3:4]
	scratch_store_b128 off, v[1:4], off offset:2264 ; 16-byte Folded Spill
	v_fma_f64 v[20:21], v[16:17], v[1:2], -v[24:25]
	v_mul_f64 v[16:17], v[16:17], v[3:4]
	s_delay_alu instid0(VALU_DEP_1)
	v_fma_f64 v[240:241], v[18:19], v[1:2], v[16:17]
	global_load_b128 v[1:4], v0, s[10:11] offset:144
	s_waitcnt vmcnt(0)
	v_mul_f64 v[16:17], v[42:43], v[3:4]
	scratch_store_b128 off, v[1:4], off offset:2312 ; 16-byte Folded Spill
	v_fma_f64 v[16:17], v[40:41], v[1:2], -v[16:17]
	scratch_store_b64 off, v[16:17], off offset:1216 ; 8-byte Folded Spill
	v_mul_f64 v[16:17], v[40:41], v[3:4]
	s_delay_alu instid0(VALU_DEP_1)
	v_fma_f64 v[1:2], v[42:43], v[1:2], v[16:17]
	scratch_store_b64 off, v[1:2], off offset:1232 ; 8-byte Folded Spill
	global_load_b128 v[1:4], v0, s[10:11] offset:160
	s_waitcnt vmcnt(0)
	v_mul_f64 v[16:17], v[58:59], v[3:4]
	scratch_store_b128 off, v[1:4], off offset:2296 ; 16-byte Folded Spill
	v_fma_f64 v[16:17], v[56:57], v[1:2], -v[16:17]
	scratch_store_b64 off, v[16:17], off offset:2080 ; 8-byte Folded Spill
	v_mul_f64 v[16:17], v[56:57], v[3:4]
	s_delay_alu instid0(VALU_DEP_1)
	v_fma_f64 v[1:2], v[58:59], v[1:2], v[16:17]
	scratch_store_b64 off, v[1:2], off offset:1264 ; 8-byte Folded Spill
	global_load_b128 v[1:4], v0, s[10:11] offset:176
	s_waitcnt vmcnt(0)
	v_mul_f64 v[16:17], v[114:115], v[3:4]
	scratch_store_b128 off, v[1:4], off offset:2248 ; 16-byte Folded Spill
	v_fma_f64 v[16:17], v[112:113], v[1:2], -v[16:17]
	s_clause 0x1
	scratch_store_b64 off, v[20:21], off offset:1168
	scratch_store_b64 off, v[16:17], off offset:320
	v_mul_f64 v[16:17], v[112:113], v[3:4]
	s_delay_alu instid0(VALU_DEP_1)
	v_fma_f64 v[1:2], v[114:115], v[1:2], v[16:17]
	scratch_store_b64 off, v[1:2], off offset:1904 ; 8-byte Folded Spill
	global_load_b128 v[1:4], v0, s[10:11] offset:192
	s_waitcnt vmcnt(0)
	v_mul_f64 v[16:17], v[14:15], v[3:4]
	scratch_store_b128 off, v[1:4], off offset:2280 ; 16-byte Folded Spill
	v_fma_f64 v[16:17], v[12:13], v[1:2], -v[16:17]
	v_mul_f64 v[12:13], v[12:13], v[3:4]
	s_delay_alu instid0(VALU_DEP_1)
	v_fma_f64 v[1:2], v[14:15], v[1:2], v[12:13]
	s_clause 0x1
	scratch_store_b64 off, v[16:17], off offset:336
	scratch_store_b64 off, v[1:2], off offset:352
	global_load_b128 v[1:4], v0, s[10:11] offset:208
	s_waitcnt vmcnt(0)
	v_mul_f64 v[12:13], v[30:31], v[3:4]
	scratch_store_b128 off, v[1:4], off offset:2120 ; 16-byte Folded Spill
	v_fma_f64 v[12:13], v[28:29], v[1:2], -v[12:13]
	scratch_store_b64 off, v[12:13], off offset:368 ; 8-byte Folded Spill
	v_mul_f64 v[12:13], v[28:29], v[3:4]
	s_delay_alu instid0(VALU_DEP_1)
	v_fma_f64 v[1:2], v[30:31], v[1:2], v[12:13]
	scratch_store_b64 off, v[1:2], off offset:384 ; 8-byte Folded Spill
	global_load_b128 v[1:4], v0, s[10:11] offset:224
	s_waitcnt vmcnt(0)
	v_mul_f64 v[12:13], v[50:51], v[3:4]
	scratch_store_b128 off, v[1:4], off offset:2104 ; 16-byte Folded Spill
	v_fma_f64 v[12:13], v[48:49], v[1:2], -v[12:13]
	scratch_store_b64 off, v[12:13], off offset:400 ; 8-byte Folded Spill
	v_mul_f64 v[12:13], v[48:49], v[3:4]
	s_delay_alu instid0(VALU_DEP_1)
	v_fma_f64 v[1:2], v[50:51], v[1:2], v[12:13]
	scratch_store_b64 off, v[1:2], off offset:416 ; 8-byte Folded Spill
	global_load_b128 v[0:3], v0, s[10:11] offset:240
	s_waitcnt vmcnt(0)
	v_mul_f64 v[12:13], v[66:67], v[2:3]
	scratch_store_b128 off, v[0:3], off offset:2328 ; 16-byte Folded Spill
	v_fma_f64 v[4:5], v[64:65], v[0:1], -v[12:13]
	v_mul_f64 v[12:13], v[64:65], v[2:3]
	s_delay_alu instid0(VALU_DEP_1)
	v_fma_f64 v[0:1], v[66:67], v[0:1], v[12:13]
	v_add_f64 v[12:13], v[212:213], -v[182:183]
	v_add_f64 v[66:67], v[212:213], v[182:183]
	scratch_store_b64 off, v[4:5], off offset:432 ; 8-byte Folded Spill
	v_mul_f64 v[4:5], v[158:159], s[28:29]
	scratch_store_b64 off, v[0:1], off offset:448 ; 8-byte Folded Spill
	v_mul_f64 v[16:17], v[12:13], s[40:41]
	v_mul_f64 v[28:29], v[12:13], s[28:29]
	;; [unrolled: 1-line block ×8, first 2 shown]
	v_add_f64 v[0:1], v[8:9], v[176:177]
	v_fma_f64 v[40:41], v[36:37], s[12:13], -v[16:17]
	v_fma_f64 v[42:43], v[36:37], s[12:13], v[16:17]
	v_add_f64 v[16:17], v[176:177], -v[180:181]
	v_fma_f64 v[56:57], v[36:37], s[20:21], -v[28:29]
	v_fma_f64 v[58:59], v[36:37], s[20:21], v[28:29]
	v_fma_f64 v[38:39], v[36:37], s[0:1], -v[14:15]
	v_fma_f64 v[14:15], v[36:37], s[0:1], v[14:15]
	;; [unrolled: 2-line block ×7, first 2 shown]
	scratch_store_b64 off, v[0:1], off offset:2064 ; 8-byte Folded Spill
	v_add_f64 v[0:1], v[10:11], v[212:213]
	v_add_f64 v[176:177], v[94:95], -v[202:203]
	v_add_f64 v[212:213], v[92:93], -v[200:201]
	v_add_f64 v[194:195], v[8:9], v[40:41]
	v_add_f64 v[166:167], v[8:9], v[42:43]
	v_mul_f64 v[28:29], v[16:17], s[36:37]
	v_mul_f64 v[24:25], v[16:17], s[40:41]
	;; [unrolled: 1-line block ×8, first 2 shown]
	v_add_f64 v[148:149], v[8:9], v[38:39]
	v_add_f64 v[198:199], v[8:9], v[14:15]
	;; [unrolled: 1-line block ×7, first 2 shown]
	scratch_store_b64 off, v[0:1], off offset:2072 ; 8-byte Folded Spill
	v_add_f64 v[0:1], v[8:9], v[12:13]
	v_mul_f64 v[12:13], v[176:177], s[22:23]
	v_mul_f64 v[2:3], v[212:213], s[22:23]
	v_fma_f64 v[116:117], v[66:67], s[16:17], v[28:29]
	v_fma_f64 v[110:111], v[66:67], s[12:13], v[24:25]
	;; [unrolled: 1-line block ×4, first 2 shown]
	v_fma_f64 v[114:115], v[66:67], s[14:15], -v[26:27]
	v_fma_f64 v[118:119], v[66:67], s[16:17], -v[28:29]
	v_fma_f64 v[120:121], v[66:67], s[18:19], v[30:31]
	v_add_f64 v[26:27], v[8:9], v[46:47]
	v_add_f64 v[46:47], v[8:9], v[52:53]
	v_fma_f64 v[106:107], v[66:67], s[0:1], v[18:19]
	v_fma_f64 v[108:109], v[66:67], s[0:1], -v[18:19]
	v_fma_f64 v[24:25], v[66:67], s[12:13], -v[24:25]
	;; [unrolled: 1-line block ×4, first 2 shown]
	v_fma_f64 v[140:141], v[66:67], s[26:27], v[62:63]
	v_fma_f64 v[142:143], v[66:67], s[26:27], -v[62:63]
	v_fma_f64 v[144:145], v[66:67], s[30:31], v[16:17]
	v_fma_f64 v[146:147], v[66:67], s[30:31], -v[16:17]
	v_add_f64 v[30:31], v[8:9], v[44:45]
	v_add_f64 v[62:63], v[8:9], v[60:61]
	;; [unrolled: 1-line block ×3, first 2 shown]
	scratch_store_b64 off, v[0:1], off offset:2048 ; 8-byte Folded Spill
	v_add_f64 v[40:41], v[10:11], v[116:117]
	v_add_f64 v[116:117], v[226:227], -v[186:187]
	v_add_f64 v[192:193], v[10:11], v[110:111]
	v_add_f64 v[28:29], v[10:11], v[112:113]
	;; [unrolled: 1-line block ×5, first 2 shown]
	v_add_f64 v[126:127], v[254:255], -v[74:75]
	v_add_f64 v[36:37], v[10:11], v[118:119]
	v_add_f64 v[44:45], v[10:11], v[120:121]
	v_add_f64 v[118:119], v[238:239], -v[184:185]
	v_add_f64 v[120:121], v[210:211], v[72:73]
	v_add_f64 v[150:151], v[10:11], v[106:107]
	;; [unrolled: 1-line block ×7, first 2 shown]
	v_add_f64 v[138:139], v[210:211], -v[72:73]
	v_add_f64 v[196:197], v[10:11], v[108:109]
	v_add_f64 v[60:61], v[10:11], v[140:141]
	;; [unrolled: 1-line block ×5, first 2 shown]
	v_add_f64 v[144:145], v[178:179], -v[102:103]
	v_add_f64 v[146:147], v[6:7], -v[100:101]
	v_mul_f64 v[104:105], v[116:117], s[40:41]
	v_mul_f64 v[20:21], v[126:127], s[42:43]
	;; [unrolled: 1-line block ×4, first 2 shown]
	scratch_store_b64 off, v[0:1], off offset:2056 ; 8-byte Folded Spill
	v_mul_f64 v[16:17], v[144:145], s[36:37]
	v_mul_f64 v[14:15], v[146:147], s[36:37]
	;; [unrolled: 1-line block ×3, first 2 shown]
	v_fma_f64 v[8:9], v[112:113], s[12:13], -v[104:105]
	v_fma_f64 v[104:105], v[112:113], s[12:13], v[104:105]
	v_fma_f64 v[122:123], v[120:121], s[14:15], -v[20:21]
	v_fma_f64 v[20:21], v[120:121], s[14:15], v[20:21]
	v_fma_f64 v[10:11], v[114:115], s[12:13], v[106:107]
	v_fma_f64 v[106:107], v[114:115], s[12:13], -v[106:107]
	v_add_f64 v[8:9], v[8:9], v[148:149]
	v_add_f64 v[104:105], v[104:105], v[198:199]
	v_mul_f64 v[198:199], v[158:159], s[50:51]
	v_add_f64 v[10:11], v[10:11], v[150:151]
	v_add_f64 v[106:107], v[106:107], v[196:197]
	v_mul_f64 v[196:197], v[156:157], s[50:51]
	v_add_f64 v[8:9], v[122:123], v[8:9]
	v_add_f64 v[122:123], v[254:255], v[74:75]
	;; [unrolled: 1-line block ×3, first 2 shown]
	s_delay_alu instid0(VALU_DEP_2) | instskip(SKIP_1) | instid1(VALU_DEP_2)
	v_fma_f64 v[140:141], v[122:123], s[14:15], v[18:19]
	v_fma_f64 v[18:19], v[122:123], s[14:15], -v[18:19]
	v_add_f64 v[10:11], v[140:141], v[10:11]
	v_add_f64 v[140:141], v[6:7], v[100:101]
	s_delay_alu instid0(VALU_DEP_3) | instskip(NEXT) | instid1(VALU_DEP_2)
	v_add_f64 v[18:19], v[18:19], v[106:107]
	v_fma_f64 v[142:143], v[140:141], s[16:17], -v[16:17]
	v_fma_f64 v[16:17], v[140:141], s[16:17], v[16:17]
	s_delay_alu instid0(VALU_DEP_2) | instskip(SKIP_1) | instid1(VALU_DEP_3)
	v_add_f64 v[8:9], v[142:143], v[8:9]
	v_add_f64 v[142:143], v[178:179], v[102:103]
	;; [unrolled: 1-line block ×3, first 2 shown]
	s_delay_alu instid0(VALU_DEP_2) | instskip(SKIP_1) | instid1(VALU_DEP_2)
	v_fma_f64 v[148:149], v[142:143], s[16:17], v[14:15]
	v_fma_f64 v[14:15], v[142:143], s[16:17], -v[14:15]
	v_add_f64 v[10:11], v[148:149], v[10:11]
	v_add_f64 v[148:149], v[92:93], v[200:201]
	s_delay_alu instid0(VALU_DEP_3) | instskip(NEXT) | instid1(VALU_DEP_2)
	v_add_f64 v[14:15], v[14:15], v[18:19]
	v_fma_f64 v[150:151], v[148:149], s[18:19], -v[12:13]
	v_fma_f64 v[12:13], v[148:149], s[18:19], v[12:13]
	s_delay_alu instid0(VALU_DEP_2) | instskip(SKIP_1) | instid1(VALU_DEP_3)
	v_add_f64 v[8:9], v[150:151], v[8:9]
	v_add_f64 v[150:151], v[94:95], v[202:203]
	;; [unrolled: 1-line block ×3, first 2 shown]
	s_delay_alu instid0(VALU_DEP_2) | instskip(SKIP_1) | instid1(VALU_DEP_2)
	v_fma_f64 v[152:153], v[150:151], s[18:19], v[2:3]
	v_fma_f64 v[2:3], v[150:151], s[18:19], -v[2:3]
	v_add_f64 v[10:11], v[152:153], v[10:11]
	v_add_f64 v[152:153], v[96:97], v[70:71]
	s_delay_alu instid0(VALU_DEP_3) | instskip(SKIP_1) | instid1(VALU_DEP_3)
	v_add_f64 v[2:3], v[2:3], v[14:15]
	v_mul_f64 v[14:15], v[126:127], s[28:29]
	v_fma_f64 v[154:155], v[152:153], s[20:21], -v[0:1]
	v_fma_f64 v[0:1], v[152:153], s[20:21], v[0:1]
	s_delay_alu instid0(VALU_DEP_3) | instskip(NEXT) | instid1(VALU_DEP_3)
	v_fma_f64 v[16:17], v[120:121], s[20:21], -v[14:15]
	v_add_f64 v[8:9], v[154:155], v[8:9]
	v_add_f64 v[154:155], v[98:99], v[68:69]
	s_delay_alu instid0(VALU_DEP_4) | instskip(NEXT) | instid1(VALU_DEP_2)
	v_add_f64 v[0:1], v[0:1], v[12:13]
	v_fma_f64 v[160:161], v[154:155], s[20:21], v[4:5]
	v_fma_f64 v[4:5], v[154:155], s[20:21], -v[4:5]
	s_delay_alu instid0(VALU_DEP_2) | instskip(SKIP_1) | instid1(VALU_DEP_3)
	v_add_f64 v[10:11], v[160:161], v[10:11]
	v_add_f64 v[160:161], v[90:91], v[80:81]
	;; [unrolled: 1-line block ×3, first 2 shown]
	s_delay_alu instid0(VALU_DEP_2) | instskip(SKIP_2) | instid1(VALU_DEP_3)
	v_fma_f64 v[162:163], v[160:161], s[26:27], -v[208:209]
	v_fma_f64 v[4:5], v[160:161], s[26:27], v[208:209]
	v_mul_f64 v[208:209], v[168:169], s[44:45]
	v_add_f64 v[8:9], v[162:163], v[8:9]
	v_add_f64 v[162:163], v[88:89], v[82:83]
	s_delay_alu instid0(VALU_DEP_4) | instskip(NEXT) | instid1(VALU_DEP_2)
	v_add_f64 v[0:1], v[4:5], v[0:1]
	v_fma_f64 v[172:173], v[162:163], s[26:27], v[214:215]
	v_fma_f64 v[4:5], v[162:163], s[26:27], -v[214:215]
	v_mul_f64 v[214:215], v[170:171], s[44:45]
	s_delay_alu instid0(VALU_DEP_3) | instskip(SKIP_3) | instid1(VALU_DEP_3)
	v_add_f64 v[216:217], v[172:173], v[10:11]
	v_add_f64 v[10:11], v[84:85], -v[76:77]
	v_add_f64 v[172:173], v[86:87], v[78:79]
	v_add_f64 v[2:3], v[4:5], v[2:3]
	v_mul_f64 v[218:219], v[10:11], s[38:39]
	s_delay_alu instid0(VALU_DEP_1) | instskip(SKIP_1) | instid1(VALU_DEP_2)
	v_fma_f64 v[174:175], v[172:173], s[30:31], -v[218:219]
	v_fma_f64 v[4:5], v[172:173], s[30:31], v[218:219]
	v_add_f64 v[222:223], v[174:175], v[8:9]
	v_add_f64 v[8:9], v[86:87], -v[78:79]
	v_add_f64 v[174:175], v[84:85], v[76:77]
	s_delay_alu instid0(VALU_DEP_4) | instskip(SKIP_1) | instid1(VALU_DEP_4)
	v_add_f64 v[0:1], v[4:5], v[0:1]
	v_mul_f64 v[4:5], v[118:119], s[36:37]
	v_mul_f64 v[220:221], v[8:9], s[38:39]
	s_delay_alu instid0(VALU_DEP_1) | instskip(SKIP_2) | instid1(VALU_DEP_3)
	v_fma_f64 v[232:233], v[174:175], s[30:31], v[220:221]
	v_fma_f64 v[12:13], v[174:175], s[30:31], -v[220:221]
	v_dual_mov_b32 v219, v242 :: v_dual_mov_b32 v220, v243
	v_add_f64 v[224:225], v[232:233], v[216:217]
	s_delay_alu instid0(VALU_DEP_3)
	v_add_f64 v[2:3], v[12:13], v[2:3]
	v_fma_f64 v[12:13], v[114:115], s[16:17], v[4:5]
	v_mul_f64 v[216:217], v[10:11], s[46:47]
	v_fma_f64 v[4:5], v[114:115], s[16:17], -v[4:5]
	s_clause 0x1
	scratch_store_b128 off, v[222:225], off offset:1312
	scratch_store_b128 off, v[0:3], off offset:1296
	v_mul_f64 v[0:1], v[116:117], s[36:37]
	v_add_f64 v[12:13], v[12:13], v[192:193]
	v_add_f64 v[4:5], v[4:5], v[164:165]
	v_mul_f64 v[164:165], v[156:157], s[24:25]
	s_delay_alu instid0(VALU_DEP_4) | instskip(SKIP_1) | instid1(VALU_DEP_2)
	v_fma_f64 v[2:3], v[112:113], s[16:17], -v[0:1]
	v_fma_f64 v[0:1], v[112:113], s[16:17], v[0:1]
	v_add_f64 v[2:3], v[2:3], v[194:195]
	s_delay_alu instid0(VALU_DEP_2) | instskip(SKIP_1) | instid1(VALU_DEP_3)
	v_add_f64 v[0:1], v[0:1], v[166:167]
	v_mul_f64 v[166:167], v[158:159], s[24:25]
	v_add_f64 v[2:3], v[16:17], v[2:3]
	v_mul_f64 v[16:17], v[138:139], s[28:29]
	s_delay_alu instid0(VALU_DEP_1) | instskip(NEXT) | instid1(VALU_DEP_1)
	v_fma_f64 v[18:19], v[122:123], s[20:21], v[16:17]
	v_add_f64 v[12:13], v[18:19], v[12:13]
	v_mul_f64 v[18:19], v[144:145], s[38:39]
	s_delay_alu instid0(VALU_DEP_1) | instskip(NEXT) | instid1(VALU_DEP_1)
	v_fma_f64 v[20:21], v[140:141], s[30:31], -v[18:19]
	v_add_f64 v[2:3], v[20:21], v[2:3]
	v_mul_f64 v[20:21], v[146:147], s[38:39]
	s_delay_alu instid0(VALU_DEP_1) | instskip(NEXT) | instid1(VALU_DEP_1)
	v_fma_f64 v[104:105], v[142:143], s[30:31], v[20:21]
	v_add_f64 v[12:13], v[104:105], v[12:13]
	v_mul_f64 v[104:105], v[176:177], s[54:55]
	s_delay_alu instid0(VALU_DEP_1) | instskip(NEXT) | instid1(VALU_DEP_1)
	v_fma_f64 v[106:107], v[148:149], s[26:27], -v[104:105]
	v_add_f64 v[2:3], v[106:107], v[2:3]
	v_mul_f64 v[106:107], v[212:213], s[54:55]
	s_delay_alu instid0(VALU_DEP_1) | instskip(NEXT) | instid1(VALU_DEP_1)
	v_fma_f64 v[192:193], v[150:151], s[26:27], v[106:107]
	v_add_f64 v[12:13], v[192:193], v[12:13]
	v_fma_f64 v[192:193], v[152:153], s[18:19], -v[196:197]
	s_delay_alu instid0(VALU_DEP_1) | instskip(SKIP_1) | instid1(VALU_DEP_1)
	v_add_f64 v[2:3], v[192:193], v[2:3]
	v_fma_f64 v[192:193], v[154:155], s[18:19], v[198:199]
	v_add_f64 v[12:13], v[192:193], v[12:13]
	v_fma_f64 v[192:193], v[160:161], s[14:15], -v[208:209]
	s_delay_alu instid0(VALU_DEP_1) | instskip(SKIP_1) | instid1(VALU_DEP_1)
	v_add_f64 v[2:3], v[192:193], v[2:3]
	;; [unrolled: 5-line block ×3, first 2 shown]
	v_mul_f64 v[2:3], v[8:9], s[46:47]
	v_fma_f64 v[194:195], v[174:175], s[0:1], v[2:3]
	v_fma_f64 v[2:3], v[174:175], s[0:1], -v[2:3]
	s_delay_alu instid0(VALU_DEP_2)
	v_add_f64 v[194:195], v[194:195], v[12:13]
	v_fma_f64 v[12:13], v[120:121], s[20:21], v[14:15]
	v_mul_f64 v[14:15], v[126:127], s[58:59]
	scratch_store_b128 off, v[192:195], off offset:1936 ; 16-byte Folded Spill
	v_add_f64 v[0:1], v[12:13], v[0:1]
	v_fma_f64 v[12:13], v[122:123], s[20:21], -v[16:17]
	v_fma_f64 v[16:17], v[120:121], s[30:31], -v[14:15]
	v_dual_mov_b32 v193, v131 :: v_dual_mov_b32 v192, v130
	s_delay_alu instid0(VALU_DEP_3) | instskip(SKIP_1) | instid1(VALU_DEP_1)
	v_add_f64 v[4:5], v[12:13], v[4:5]
	v_fma_f64 v[12:13], v[140:141], s[30:31], v[18:19]
	v_add_f64 v[0:1], v[12:13], v[0:1]
	v_fma_f64 v[12:13], v[142:143], s[30:31], -v[20:21]
	s_delay_alu instid0(VALU_DEP_1) | instskip(SKIP_2) | instid1(VALU_DEP_2)
	v_add_f64 v[4:5], v[12:13], v[4:5]
	v_fma_f64 v[12:13], v[148:149], s[26:27], v[104:105]
	v_mul_f64 v[104:105], v[176:177], s[48:49]
	v_add_f64 v[0:1], v[12:13], v[0:1]
	v_fma_f64 v[12:13], v[150:151], s[26:27], -v[106:107]
	v_mul_f64 v[106:107], v[212:213], s[48:49]
	s_delay_alu instid0(VALU_DEP_2) | instskip(SKIP_2) | instid1(VALU_DEP_2)
	v_add_f64 v[4:5], v[12:13], v[4:5]
	v_fma_f64 v[12:13], v[152:153], s[18:19], v[196:197]
	v_mul_f64 v[196:197], v[168:169], s[36:37]
	v_add_f64 v[0:1], v[12:13], v[0:1]
	v_fma_f64 v[12:13], v[154:155], s[18:19], -v[198:199]
	v_mul_f64 v[198:199], v[170:171], s[36:37]
	s_delay_alu instid0(VALU_DEP_2) | instskip(SKIP_2) | instid1(VALU_DEP_2)
	v_add_f64 v[4:5], v[12:13], v[4:5]
	v_fma_f64 v[12:13], v[160:161], s[14:15], v[208:209]
	v_mul_f64 v[208:209], v[10:11], s[34:35]
	v_add_f64 v[0:1], v[12:13], v[0:1]
	v_fma_f64 v[12:13], v[162:163], s[14:15], -v[214:215]
	s_delay_alu instid0(VALU_DEP_1)
	v_add_f64 v[4:5], v[12:13], v[4:5]
	v_fma_f64 v[12:13], v[172:173], s[0:1], v[216:217]
	s_clause 0x3
	scratch_load_b64 v[215:216], off, off offset:304
	scratch_load_b64 v[217:218], off, off offset:288
	;; [unrolled: 1-line block ×4, first 2 shown]
	v_add_f64 v[2:3], v[2:3], v[4:5]
	v_add_f64 v[0:1], v[12:13], v[0:1]
	v_mul_f64 v[4:5], v[118:119], s[28:29]
	scratch_store_b128 off, v[0:3], off offset:1920 ; 16-byte Folded Spill
	v_mul_f64 v[0:1], v[116:117], s[28:29]
	v_fma_f64 v[12:13], v[114:115], s[20:21], v[4:5]
	v_fma_f64 v[4:5], v[114:115], s[20:21], -v[4:5]
	s_delay_alu instid0(VALU_DEP_3) | instskip(NEXT) | instid1(VALU_DEP_3)
	v_fma_f64 v[2:3], v[112:113], s[20:21], -v[0:1]
	v_add_f64 v[12:13], v[12:13], v[28:29]
	v_fma_f64 v[0:1], v[112:113], s[20:21], v[0:1]
	s_delay_alu instid0(VALU_DEP_4) | instskip(SKIP_4) | instid1(VALU_DEP_3)
	v_add_f64 v[4:5], v[4:5], v[24:25]
	scratch_load_b64 v[24:25], off, off offset:2080 ; 8-byte Folded Reload
	v_add_f64 v[2:3], v[2:3], v[30:31]
	v_add_f64 v[0:1], v[0:1], v[26:27]
	v_dual_mov_b32 v26, v240 :: v_dual_mov_b32 v27, v241
	v_add_f64 v[2:3], v[16:17], v[2:3]
	v_mul_f64 v[16:17], v[138:139], s[58:59]
	s_delay_alu instid0(VALU_DEP_1) | instskip(NEXT) | instid1(VALU_DEP_1)
	v_fma_f64 v[18:19], v[122:123], s[30:31], v[16:17]
	v_add_f64 v[12:13], v[18:19], v[12:13]
	v_mul_f64 v[18:19], v[144:145], s[50:51]
	s_delay_alu instid0(VALU_DEP_1) | instskip(NEXT) | instid1(VALU_DEP_1)
	v_fma_f64 v[20:21], v[140:141], s[18:19], -v[18:19]
	v_add_f64 v[2:3], v[20:21], v[2:3]
	v_mul_f64 v[20:21], v[146:147], s[50:51]
	s_delay_alu instid0(VALU_DEP_1) | instskip(NEXT) | instid1(VALU_DEP_1)
	v_fma_f64 v[28:29], v[142:143], s[18:19], v[20:21]
	v_add_f64 v[12:13], v[28:29], v[12:13]
	v_fma_f64 v[28:29], v[148:149], s[12:13], -v[104:105]
	s_delay_alu instid0(VALU_DEP_1) | instskip(SKIP_1) | instid1(VALU_DEP_1)
	v_add_f64 v[2:3], v[28:29], v[2:3]
	v_fma_f64 v[28:29], v[150:151], s[12:13], v[106:107]
	v_add_f64 v[12:13], v[28:29], v[12:13]
	v_fma_f64 v[28:29], v[152:153], s[0:1], -v[164:165]
	s_delay_alu instid0(VALU_DEP_1) | instskip(SKIP_1) | instid1(VALU_DEP_1)
	v_add_f64 v[2:3], v[28:29], v[2:3]
	;; [unrolled: 5-line block ×4, first 2 shown]
	v_mul_f64 v[2:3], v[8:9], s[34:35]
	v_fma_f64 v[30:31], v[174:175], s[26:27], v[2:3]
	v_fma_f64 v[2:3], v[174:175], s[26:27], -v[2:3]
	s_delay_alu instid0(VALU_DEP_2) | instskip(SKIP_2) | instid1(VALU_DEP_2)
	v_add_f64 v[30:31], v[30:31], v[12:13]
	v_fma_f64 v[12:13], v[120:121], s[30:31], v[14:15]
	v_mul_f64 v[14:15], v[126:127], s[50:51]
	v_add_f64 v[0:1], v[12:13], v[0:1]
	v_fma_f64 v[12:13], v[122:123], s[30:31], -v[16:17]
	s_delay_alu instid0(VALU_DEP_3) | instskip(NEXT) | instid1(VALU_DEP_2)
	v_fma_f64 v[16:17], v[120:121], s[18:19], -v[14:15]
	v_add_f64 v[4:5], v[12:13], v[4:5]
	v_fma_f64 v[12:13], v[140:141], s[18:19], v[18:19]
	s_delay_alu instid0(VALU_DEP_1) | instskip(SKIP_1) | instid1(VALU_DEP_1)
	v_add_f64 v[0:1], v[12:13], v[0:1]
	v_fma_f64 v[12:13], v[142:143], s[18:19], -v[20:21]
	v_add_f64 v[4:5], v[12:13], v[4:5]
	v_fma_f64 v[12:13], v[148:149], s[12:13], v[104:105]
	v_mul_f64 v[104:105], v[176:177], s[42:43]
	s_delay_alu instid0(VALU_DEP_2) | instskip(SKIP_2) | instid1(VALU_DEP_2)
	v_add_f64 v[0:1], v[12:13], v[0:1]
	v_fma_f64 v[12:13], v[150:151], s[12:13], -v[106:107]
	v_mul_f64 v[106:107], v[212:213], s[42:43]
	v_add_f64 v[4:5], v[12:13], v[4:5]
	v_fma_f64 v[12:13], v[152:153], s[0:1], v[164:165]
	v_mul_f64 v[164:165], v[156:157], s[34:35]
	s_delay_alu instid0(VALU_DEP_2) | instskip(SKIP_2) | instid1(VALU_DEP_2)
	v_add_f64 v[0:1], v[12:13], v[0:1]
	v_fma_f64 v[12:13], v[154:155], s[0:1], -v[166:167]
	v_mul_f64 v[166:167], v[158:159], s[34:35]
	;; [unrolled: 7-line block ×3, first 2 shown]
	v_add_f64 v[4:5], v[12:13], v[4:5]
	v_fma_f64 v[12:13], v[172:173], s[26:27], v[208:209]
	v_mul_f64 v[208:209], v[10:11], s[48:49]
	s_delay_alu instid0(VALU_DEP_3) | instskip(NEXT) | instid1(VALU_DEP_3)
	v_add_f64 v[2:3], v[2:3], v[4:5]
	v_add_f64 v[0:1], v[12:13], v[0:1]
	scratch_store_b128 off, v[28:31], off offset:1968 ; 16-byte Folded Spill
	v_mul_f64 v[4:5], v[118:119], s[38:39]
	scratch_store_b128 off, v[0:3], off offset:1952 ; 16-byte Folded Spill
	v_mul_f64 v[0:1], v[116:117], s[38:39]
	v_fma_f64 v[12:13], v[114:115], s[30:31], v[4:5]
	v_fma_f64 v[4:5], v[114:115], s[30:31], -v[4:5]
	s_delay_alu instid0(VALU_DEP_3) | instskip(NEXT) | instid1(VALU_DEP_3)
	v_fma_f64 v[2:3], v[112:113], s[30:31], -v[0:1]
	v_add_f64 v[12:13], v[12:13], v[40:41]
	v_fma_f64 v[0:1], v[112:113], s[30:31], v[0:1]
	s_delay_alu instid0(VALU_DEP_4)
	v_add_f64 v[4:5], v[4:5], v[36:37]
	scratch_load_b64 v[36:37], off, off offset:160 ; 8-byte Folded Reload
	v_add_f64 v[2:3], v[2:3], v[42:43]
	v_add_f64 v[0:1], v[0:1], v[38:39]
	scratch_load_b64 v[38:39], off, off offset:176 ; 8-byte Folded Reload
	v_add_f64 v[2:3], v[16:17], v[2:3]
	v_mul_f64 v[16:17], v[138:139], s[50:51]
	s_delay_alu instid0(VALU_DEP_1) | instskip(NEXT) | instid1(VALU_DEP_1)
	v_fma_f64 v[18:19], v[122:123], s[18:19], v[16:17]
	v_add_f64 v[12:13], v[18:19], v[12:13]
	v_mul_f64 v[18:19], v[144:145], s[46:47]
	s_delay_alu instid0(VALU_DEP_1) | instskip(NEXT) | instid1(VALU_DEP_1)
	v_fma_f64 v[20:21], v[140:141], s[0:1], -v[18:19]
	v_add_f64 v[2:3], v[20:21], v[2:3]
	v_mul_f64 v[20:21], v[146:147], s[46:47]
	s_delay_alu instid0(VALU_DEP_1) | instskip(NEXT) | instid1(VALU_DEP_1)
	v_fma_f64 v[40:41], v[142:143], s[0:1], v[20:21]
	v_add_f64 v[12:13], v[40:41], v[12:13]
	v_fma_f64 v[40:41], v[148:149], s[14:15], -v[104:105]
	s_delay_alu instid0(VALU_DEP_1) | instskip(SKIP_1) | instid1(VALU_DEP_1)
	v_add_f64 v[2:3], v[40:41], v[2:3]
	v_fma_f64 v[40:41], v[150:151], s[14:15], v[106:107]
	v_add_f64 v[12:13], v[40:41], v[12:13]
	v_fma_f64 v[40:41], v[152:153], s[26:27], -v[164:165]
	s_delay_alu instid0(VALU_DEP_1) | instskip(SKIP_1) | instid1(VALU_DEP_1)
	v_add_f64 v[2:3], v[40:41], v[2:3]
	;; [unrolled: 5-line block ×3, first 2 shown]
	v_fma_f64 v[40:41], v[162:163], s[20:21], v[198:199]
	v_add_f64 v[12:13], v[40:41], v[12:13]
	v_fma_f64 v[40:41], v[172:173], s[12:13], -v[208:209]
	s_delay_alu instid0(VALU_DEP_1) | instskip(SKIP_4) | instid1(VALU_DEP_2)
	v_add_f64 v[28:29], v[40:41], v[2:3]
	v_mul_f64 v[2:3], v[8:9], s[48:49]
	scratch_load_b64 v[40:41], off, off offset:192 ; 8-byte Folded Reload
	v_fma_f64 v[42:43], v[174:175], s[12:13], v[2:3]
	v_fma_f64 v[2:3], v[174:175], s[12:13], -v[2:3]
	v_add_f64 v[30:31], v[42:43], v[12:13]
	v_fma_f64 v[12:13], v[120:121], s[18:19], v[14:15]
	v_mul_f64 v[14:15], v[126:127], s[48:49]
	scratch_load_b64 v[42:43], off, off offset:112 ; 8-byte Folded Reload
	v_add_f64 v[0:1], v[12:13], v[0:1]
	v_fma_f64 v[12:13], v[122:123], s[18:19], -v[16:17]
	v_fma_f64 v[16:17], v[120:121], s[12:13], -v[14:15]
	s_delay_alu instid0(VALU_DEP_2) | instskip(SKIP_1) | instid1(VALU_DEP_1)
	v_add_f64 v[4:5], v[12:13], v[4:5]
	v_fma_f64 v[12:13], v[140:141], s[0:1], v[18:19]
	v_add_f64 v[0:1], v[12:13], v[0:1]
	v_fma_f64 v[12:13], v[142:143], s[0:1], -v[20:21]
	s_delay_alu instid0(VALU_DEP_1) | instskip(SKIP_2) | instid1(VALU_DEP_2)
	v_add_f64 v[4:5], v[12:13], v[4:5]
	v_fma_f64 v[12:13], v[148:149], s[14:15], v[104:105]
	v_mul_f64 v[104:105], v[176:177], s[38:39]
	v_add_f64 v[0:1], v[12:13], v[0:1]
	v_fma_f64 v[12:13], v[150:151], s[14:15], -v[106:107]
	v_mul_f64 v[106:107], v[212:213], s[38:39]
	s_delay_alu instid0(VALU_DEP_2) | instskip(SKIP_2) | instid1(VALU_DEP_2)
	v_add_f64 v[4:5], v[12:13], v[4:5]
	v_fma_f64 v[12:13], v[152:153], s[26:27], v[164:165]
	v_mul_f64 v[164:165], v[156:157], s[52:53]
	v_add_f64 v[0:1], v[12:13], v[0:1]
	v_fma_f64 v[12:13], v[154:155], s[26:27], -v[166:167]
	v_mul_f64 v[166:167], v[158:159], s[52:53]
	s_delay_alu instid0(VALU_DEP_2) | instskip(SKIP_2) | instid1(VALU_DEP_2)
	v_add_f64 v[4:5], v[12:13], v[4:5]
	v_fma_f64 v[12:13], v[160:161], s[20:21], v[196:197]
	v_mul_f64 v[196:197], v[168:169], s[24:25]
	v_add_f64 v[0:1], v[12:13], v[0:1]
	v_fma_f64 v[12:13], v[162:163], s[20:21], -v[198:199]
	v_mul_f64 v[198:199], v[170:171], s[24:25]
	s_delay_alu instid0(VALU_DEP_2) | instskip(SKIP_2) | instid1(VALU_DEP_3)
	v_add_f64 v[4:5], v[12:13], v[4:5]
	v_fma_f64 v[12:13], v[172:173], s[12:13], v[208:209]
	v_mul_f64 v[208:209], v[10:11], s[28:29]
	v_add_f64 v[2:3], v[2:3], v[4:5]
	s_delay_alu instid0(VALU_DEP_3)
	v_add_f64 v[0:1], v[12:13], v[0:1]
	scratch_store_b128 off, v[28:31], off offset:2000 ; 16-byte Folded Spill
	v_mul_f64 v[4:5], v[118:119], s[54:55]
	s_clause 0x1
	scratch_load_b64 v[30:31], off, off offset:144
	scratch_load_b64 v[28:29], off, off offset:320
	scratch_store_b128 off, v[0:3], off offset:1984 ; 16-byte Folded Spill
	v_mul_f64 v[0:1], v[116:117], s[54:55]
	v_fma_f64 v[12:13], v[114:115], s[26:27], v[4:5]
	v_fma_f64 v[4:5], v[114:115], s[26:27], -v[4:5]
	s_delay_alu instid0(VALU_DEP_3) | instskip(NEXT) | instid1(VALU_DEP_3)
	v_fma_f64 v[2:3], v[112:113], s[26:27], -v[0:1]
	v_add_f64 v[12:13], v[12:13], v[44:45]
	v_fma_f64 v[0:1], v[112:113], s[26:27], v[0:1]
	s_delay_alu instid0(VALU_DEP_4) | instskip(NEXT) | instid1(VALU_DEP_4)
	v_add_f64 v[4:5], v[4:5], v[48:49]
	v_add_f64 v[2:3], v[2:3], v[46:47]
	s_delay_alu instid0(VALU_DEP_3) | instskip(NEXT) | instid1(VALU_DEP_2)
	v_add_f64 v[0:1], v[0:1], v[50:51]
	v_add_f64 v[2:3], v[16:17], v[2:3]
	v_mul_f64 v[16:17], v[138:139], s[48:49]
	s_delay_alu instid0(VALU_DEP_1) | instskip(NEXT) | instid1(VALU_DEP_1)
	v_fma_f64 v[18:19], v[122:123], s[12:13], v[16:17]
	v_add_f64 v[12:13], v[18:19], v[12:13]
	v_mul_f64 v[18:19], v[144:145], s[42:43]
	s_delay_alu instid0(VALU_DEP_1) | instskip(NEXT) | instid1(VALU_DEP_1)
	v_fma_f64 v[20:21], v[140:141], s[14:15], -v[18:19]
	v_add_f64 v[2:3], v[20:21], v[2:3]
	v_mul_f64 v[20:21], v[146:147], s[42:43]
	s_delay_alu instid0(VALU_DEP_1) | instskip(NEXT) | instid1(VALU_DEP_1)
	v_fma_f64 v[44:45], v[142:143], s[14:15], v[20:21]
	v_add_f64 v[12:13], v[44:45], v[12:13]
	v_fma_f64 v[44:45], v[148:149], s[30:31], -v[104:105]
	s_delay_alu instid0(VALU_DEP_1) | instskip(SKIP_1) | instid1(VALU_DEP_1)
	v_add_f64 v[2:3], v[44:45], v[2:3]
	v_fma_f64 v[44:45], v[150:151], s[30:31], v[106:107]
	v_add_f64 v[12:13], v[44:45], v[12:13]
	v_fma_f64 v[44:45], v[152:153], s[16:17], -v[164:165]
	s_delay_alu instid0(VALU_DEP_1) | instskip(SKIP_1) | instid1(VALU_DEP_1)
	v_add_f64 v[2:3], v[44:45], v[2:3]
	;; [unrolled: 5-line block ×4, first 2 shown]
	v_mul_f64 v[2:3], v[8:9], s[28:29]
	v_fma_f64 v[46:47], v[174:175], s[20:21], v[2:3]
	v_fma_f64 v[2:3], v[174:175], s[20:21], -v[2:3]
	s_delay_alu instid0(VALU_DEP_2) | instskip(SKIP_2) | instid1(VALU_DEP_2)
	v_add_f64 v[46:47], v[46:47], v[12:13]
	v_fma_f64 v[12:13], v[120:121], s[12:13], v[14:15]
	v_mul_f64 v[14:15], v[126:127], s[24:25]
	v_add_f64 v[0:1], v[12:13], v[0:1]
	v_fma_f64 v[12:13], v[122:123], s[12:13], -v[16:17]
	s_delay_alu instid0(VALU_DEP_3) | instskip(NEXT) | instid1(VALU_DEP_2)
	v_fma_f64 v[16:17], v[120:121], s[0:1], -v[14:15]
	v_add_f64 v[4:5], v[12:13], v[4:5]
	v_fma_f64 v[12:13], v[140:141], s[14:15], v[18:19]
	s_delay_alu instid0(VALU_DEP_1) | instskip(SKIP_1) | instid1(VALU_DEP_1)
	v_add_f64 v[0:1], v[12:13], v[0:1]
	v_fma_f64 v[12:13], v[142:143], s[14:15], -v[20:21]
	v_add_f64 v[4:5], v[12:13], v[4:5]
	v_fma_f64 v[12:13], v[148:149], s[30:31], v[104:105]
	v_mul_f64 v[104:105], v[176:177], s[52:53]
	s_delay_alu instid0(VALU_DEP_2) | instskip(SKIP_2) | instid1(VALU_DEP_2)
	v_add_f64 v[0:1], v[12:13], v[0:1]
	v_fma_f64 v[12:13], v[150:151], s[30:31], -v[106:107]
	v_mul_f64 v[106:107], v[212:213], s[52:53]
	v_add_f64 v[4:5], v[12:13], v[4:5]
	v_fma_f64 v[12:13], v[152:153], s[16:17], v[164:165]
	v_mul_f64 v[164:165], v[156:157], s[40:41]
	s_delay_alu instid0(VALU_DEP_2) | instskip(SKIP_2) | instid1(VALU_DEP_2)
	v_add_f64 v[0:1], v[12:13], v[0:1]
	v_fma_f64 v[12:13], v[154:155], s[16:17], -v[166:167]
	v_mul_f64 v[166:167], v[158:159], s[40:41]
	v_add_f64 v[4:5], v[12:13], v[4:5]
	v_fma_f64 v[12:13], v[160:161], s[0:1], v[196:197]
	v_mul_f64 v[196:197], v[168:169], s[38:39]
	s_delay_alu instid0(VALU_DEP_2) | instskip(SKIP_2) | instid1(VALU_DEP_2)
	v_add_f64 v[0:1], v[12:13], v[0:1]
	v_fma_f64 v[12:13], v[162:163], s[0:1], -v[198:199]
	v_mul_f64 v[198:199], v[170:171], s[38:39]
	v_add_f64 v[4:5], v[12:13], v[4:5]
	v_fma_f64 v[12:13], v[172:173], s[20:21], v[208:209]
	v_mul_f64 v[208:209], v[10:11], s[44:45]
	s_delay_alu instid0(VALU_DEP_3) | instskip(NEXT) | instid1(VALU_DEP_3)
	v_add_f64 v[50:51], v[2:3], v[4:5]
	v_add_f64 v[48:49], v[12:13], v[0:1]
	v_mul_f64 v[0:1], v[116:117], s[50:51]
	v_mul_f64 v[4:5], v[118:119], s[50:51]
	s_delay_alu instid0(VALU_DEP_2) | instskip(NEXT) | instid1(VALU_DEP_2)
	v_fma_f64 v[2:3], v[112:113], s[18:19], -v[0:1]
	v_fma_f64 v[12:13], v[114:115], s[18:19], v[4:5]
	v_fma_f64 v[0:1], v[112:113], s[18:19], v[0:1]
	v_fma_f64 v[4:5], v[114:115], s[18:19], -v[4:5]
	s_delay_alu instid0(VALU_DEP_4) | instskip(NEXT) | instid1(VALU_DEP_4)
	v_add_f64 v[2:3], v[2:3], v[54:55]
	v_add_f64 v[12:13], v[12:13], v[52:53]
	s_delay_alu instid0(VALU_DEP_4) | instskip(NEXT) | instid1(VALU_DEP_4)
	v_add_f64 v[0:1], v[0:1], v[58:59]
	v_add_f64 v[4:5], v[4:5], v[56:57]
	s_delay_alu instid0(VALU_DEP_4) | instskip(SKIP_1) | instid1(VALU_DEP_1)
	v_add_f64 v[2:3], v[16:17], v[2:3]
	v_mul_f64 v[16:17], v[138:139], s[24:25]
	v_fma_f64 v[18:19], v[122:123], s[0:1], v[16:17]
	s_delay_alu instid0(VALU_DEP_1) | instskip(SKIP_1) | instid1(VALU_DEP_1)
	v_add_f64 v[12:13], v[18:19], v[12:13]
	v_mul_f64 v[18:19], v[144:145], s[34:35]
	v_fma_f64 v[20:21], v[140:141], s[26:27], -v[18:19]
	s_delay_alu instid0(VALU_DEP_1) | instskip(SKIP_1) | instid1(VALU_DEP_1)
	v_add_f64 v[2:3], v[20:21], v[2:3]
	v_mul_f64 v[20:21], v[146:147], s[34:35]
	v_fma_f64 v[52:53], v[142:143], s[26:27], v[20:21]
	s_delay_alu instid0(VALU_DEP_1) | instskip(SKIP_1) | instid1(VALU_DEP_1)
	v_add_f64 v[12:13], v[52:53], v[12:13]
	v_fma_f64 v[52:53], v[148:149], s[16:17], -v[104:105]
	v_add_f64 v[2:3], v[52:53], v[2:3]
	v_fma_f64 v[52:53], v[150:151], s[16:17], v[106:107]
	s_delay_alu instid0(VALU_DEP_1) | instskip(SKIP_1) | instid1(VALU_DEP_1)
	v_add_f64 v[12:13], v[52:53], v[12:13]
	v_fma_f64 v[52:53], v[152:153], s[12:13], -v[164:165]
	v_add_f64 v[2:3], v[52:53], v[2:3]
	;; [unrolled: 5-line block ×4, first 2 shown]
	v_mul_f64 v[2:3], v[8:9], s[44:45]
	s_delay_alu instid0(VALU_DEP_1) | instskip(SKIP_1) | instid1(VALU_DEP_2)
	v_fma_f64 v[54:55], v[174:175], s[14:15], v[2:3]
	v_fma_f64 v[2:3], v[174:175], s[14:15], -v[2:3]
	v_add_f64 v[54:55], v[54:55], v[12:13]
	v_fma_f64 v[12:13], v[120:121], s[0:1], v[14:15]
	v_mul_f64 v[14:15], v[126:127], s[36:37]
	s_delay_alu instid0(VALU_DEP_2) | instskip(SKIP_1) | instid1(VALU_DEP_3)
	v_add_f64 v[0:1], v[12:13], v[0:1]
	v_fma_f64 v[12:13], v[122:123], s[0:1], -v[16:17]
	v_fma_f64 v[16:17], v[120:121], s[16:17], -v[14:15]
	s_delay_alu instid0(VALU_DEP_2) | instskip(SKIP_1) | instid1(VALU_DEP_1)
	v_add_f64 v[4:5], v[12:13], v[4:5]
	v_fma_f64 v[12:13], v[140:141], s[26:27], v[18:19]
	v_add_f64 v[0:1], v[12:13], v[0:1]
	v_fma_f64 v[12:13], v[142:143], s[26:27], -v[20:21]
	s_delay_alu instid0(VALU_DEP_1) | instskip(SKIP_2) | instid1(VALU_DEP_2)
	v_add_f64 v[4:5], v[12:13], v[4:5]
	v_fma_f64 v[12:13], v[148:149], s[16:17], v[104:105]
	v_mul_f64 v[104:105], v[176:177], s[24:25]
	v_add_f64 v[0:1], v[12:13], v[0:1]
	v_fma_f64 v[12:13], v[150:151], s[16:17], -v[106:107]
	v_mul_f64 v[106:107], v[212:213], s[24:25]
	s_delay_alu instid0(VALU_DEP_2) | instskip(SKIP_2) | instid1(VALU_DEP_2)
	v_add_f64 v[4:5], v[12:13], v[4:5]
	v_fma_f64 v[12:13], v[152:153], s[12:13], v[164:165]
	v_mul_f64 v[164:165], v[156:157], s[38:39]
	v_add_f64 v[0:1], v[12:13], v[0:1]
	v_fma_f64 v[12:13], v[154:155], s[12:13], -v[166:167]
	v_mul_f64 v[166:167], v[158:159], s[38:39]
	s_delay_alu instid0(VALU_DEP_2) | instskip(SKIP_2) | instid1(VALU_DEP_2)
	v_add_f64 v[4:5], v[12:13], v[4:5]
	v_fma_f64 v[12:13], v[160:161], s[30:31], v[196:197]
	v_mul_f64 v[196:197], v[168:169], s[48:49]
	v_add_f64 v[0:1], v[12:13], v[0:1]
	v_fma_f64 v[12:13], v[162:163], s[30:31], -v[198:199]
	v_mul_f64 v[198:199], v[170:171], s[48:49]
	s_delay_alu instid0(VALU_DEP_2) | instskip(SKIP_3) | instid1(VALU_DEP_4)
	v_add_f64 v[4:5], v[12:13], v[4:5]
	v_fma_f64 v[12:13], v[172:173], s[14:15], v[208:209]
	v_mul_f64 v[208:209], v[10:11], s[22:23]
	v_mul_f64 v[10:11], v[10:11], s[52:53]
	v_add_f64 v[58:59], v[2:3], v[4:5]
	s_delay_alu instid0(VALU_DEP_4) | instskip(SKIP_2) | instid1(VALU_DEP_2)
	v_add_f64 v[56:57], v[12:13], v[0:1]
	v_mul_f64 v[0:1], v[116:117], s[44:45]
	v_mul_f64 v[4:5], v[118:119], s[44:45]
	v_fma_f64 v[2:3], v[112:113], s[14:15], -v[0:1]
	s_delay_alu instid0(VALU_DEP_2) | instskip(SKIP_2) | instid1(VALU_DEP_4)
	v_fma_f64 v[12:13], v[114:115], s[14:15], v[4:5]
	v_fma_f64 v[0:1], v[112:113], s[14:15], v[0:1]
	v_fma_f64 v[4:5], v[114:115], s[14:15], -v[4:5]
	v_add_f64 v[2:3], v[2:3], v[62:63]
	s_delay_alu instid0(VALU_DEP_4) | instskip(NEXT) | instid1(VALU_DEP_4)
	v_add_f64 v[12:13], v[12:13], v[60:61]
	v_add_f64 v[0:1], v[0:1], v[66:67]
	s_delay_alu instid0(VALU_DEP_4) | instskip(NEXT) | instid1(VALU_DEP_4)
	v_add_f64 v[4:5], v[4:5], v[64:65]
	v_add_f64 v[2:3], v[16:17], v[2:3]
	v_mul_f64 v[16:17], v[138:139], s[36:37]
	s_delay_alu instid0(VALU_DEP_1) | instskip(NEXT) | instid1(VALU_DEP_1)
	v_fma_f64 v[18:19], v[122:123], s[16:17], v[16:17]
	v_add_f64 v[12:13], v[18:19], v[12:13]
	v_mul_f64 v[18:19], v[144:145], s[56:57]
	s_delay_alu instid0(VALU_DEP_1) | instskip(NEXT) | instid1(VALU_DEP_1)
	v_fma_f64 v[20:21], v[140:141], s[20:21], -v[18:19]
	v_add_f64 v[2:3], v[20:21], v[2:3]
	v_mul_f64 v[20:21], v[146:147], s[56:57]
	s_delay_alu instid0(VALU_DEP_1) | instskip(NEXT) | instid1(VALU_DEP_1)
	v_fma_f64 v[60:61], v[142:143], s[20:21], v[20:21]
	v_add_f64 v[12:13], v[60:61], v[12:13]
	v_fma_f64 v[60:61], v[148:149], s[0:1], -v[104:105]
	s_delay_alu instid0(VALU_DEP_1) | instskip(SKIP_1) | instid1(VALU_DEP_1)
	v_add_f64 v[2:3], v[60:61], v[2:3]
	v_fma_f64 v[60:61], v[150:151], s[0:1], v[106:107]
	v_add_f64 v[12:13], v[60:61], v[12:13]
	v_fma_f64 v[60:61], v[152:153], s[30:31], -v[164:165]
	s_delay_alu instid0(VALU_DEP_1) | instskip(SKIP_1) | instid1(VALU_DEP_1)
	v_add_f64 v[2:3], v[60:61], v[2:3]
	;; [unrolled: 5-line block ×3, first 2 shown]
	v_fma_f64 v[60:61], v[162:163], s[12:13], v[198:199]
	v_add_f64 v[12:13], v[60:61], v[12:13]
	v_fma_f64 v[60:61], v[172:173], s[18:19], -v[208:209]
	s_delay_alu instid0(VALU_DEP_1) | instskip(SKIP_2) | instid1(VALU_DEP_2)
	v_add_f64 v[60:61], v[60:61], v[2:3]
	v_mul_f64 v[2:3], v[8:9], s[22:23]
	v_mul_f64 v[8:9], v[8:9], s[52:53]
	v_fma_f64 v[62:63], v[174:175], s[18:19], v[2:3]
	v_fma_f64 v[2:3], v[174:175], s[18:19], -v[2:3]
	s_delay_alu instid0(VALU_DEP_2) | instskip(SKIP_3) | instid1(VALU_DEP_3)
	v_add_f64 v[62:63], v[62:63], v[12:13]
	v_fma_f64 v[12:13], v[120:121], s[16:17], v[14:15]
	v_mul_f64 v[14:15], v[126:127], s[34:35]
	v_mul_f64 v[126:127], v[168:169], s[22:23]
	v_add_f64 v[0:1], v[12:13], v[0:1]
	v_fma_f64 v[12:13], v[122:123], s[16:17], -v[16:17]
	s_delay_alu instid0(VALU_DEP_4) | instskip(NEXT) | instid1(VALU_DEP_2)
	v_fma_f64 v[16:17], v[120:121], s[26:27], -v[14:15]
	v_add_f64 v[4:5], v[12:13], v[4:5]
	v_fma_f64 v[12:13], v[140:141], s[20:21], v[18:19]
	s_delay_alu instid0(VALU_DEP_1) | instskip(SKIP_1) | instid1(VALU_DEP_1)
	v_add_f64 v[0:1], v[12:13], v[0:1]
	v_fma_f64 v[12:13], v[142:143], s[20:21], -v[20:21]
	v_add_f64 v[4:5], v[12:13], v[4:5]
	v_fma_f64 v[12:13], v[148:149], s[0:1], v[104:105]
	s_delay_alu instid0(VALU_DEP_1) | instskip(SKIP_1) | instid1(VALU_DEP_1)
	v_add_f64 v[0:1], v[12:13], v[0:1]
	v_fma_f64 v[12:13], v[150:151], s[0:1], -v[106:107]
	v_add_f64 v[4:5], v[12:13], v[4:5]
	v_fma_f64 v[12:13], v[152:153], s[30:31], v[164:165]
	scratch_load_b64 v[164:165], off, off offset:128 ; 8-byte Folded Reload
	v_add_f64 v[0:1], v[12:13], v[0:1]
	v_fma_f64 v[12:13], v[154:155], s[30:31], -v[166:167]
	scratch_load_b64 v[166:167], off, off offset:224 ; 8-byte Folded Reload
	v_add_f64 v[4:5], v[12:13], v[4:5]
	v_fma_f64 v[12:13], v[160:161], s[12:13], v[196:197]
	s_delay_alu instid0(VALU_DEP_1) | instskip(SKIP_1) | instid1(VALU_DEP_1)
	v_add_f64 v[0:1], v[12:13], v[0:1]
	v_fma_f64 v[12:13], v[162:163], s[12:13], -v[198:199]
	v_add_f64 v[4:5], v[12:13], v[4:5]
	v_fma_f64 v[12:13], v[172:173], s[18:19], v[208:209]
	s_delay_alu instid0(VALU_DEP_2) | instskip(NEXT) | instid1(VALU_DEP_2)
	v_add_f64 v[66:67], v[2:3], v[4:5]
	v_add_f64 v[64:65], v[12:13], v[0:1]
	v_mul_f64 v[0:1], v[116:117], s[46:47]
	v_mul_f64 v[12:13], v[118:119], s[46:47]
	;; [unrolled: 1-line block ×4, first 2 shown]
	s_delay_alu instid0(VALU_DEP_4) | instskip(NEXT) | instid1(VALU_DEP_4)
	v_fma_f64 v[2:3], v[112:113], s[0:1], -v[0:1]
	v_fma_f64 v[4:5], v[114:115], s[0:1], v[12:13]
	v_fma_f64 v[0:1], v[112:113], s[0:1], v[0:1]
	s_delay_alu instid0(VALU_DEP_3) | instskip(NEXT) | instid1(VALU_DEP_3)
	v_add_f64 v[2:3], v[2:3], v[110:111]
	v_add_f64 v[4:5], v[4:5], v[108:109]
	s_delay_alu instid0(VALU_DEP_2) | instskip(SKIP_2) | instid1(VALU_DEP_2)
	v_add_f64 v[2:3], v[16:17], v[2:3]
	v_mul_f64 v[16:17], v[138:139], s[34:35]
	v_mul_f64 v[138:139], v[170:171], s[22:23]
	v_fma_f64 v[18:19], v[122:123], s[26:27], v[16:17]
	s_delay_alu instid0(VALU_DEP_1) | instskip(SKIP_1) | instid1(VALU_DEP_1)
	v_add_f64 v[4:5], v[18:19], v[4:5]
	v_mul_f64 v[18:19], v[144:145], s[48:49]
	v_fma_f64 v[20:21], v[140:141], s[12:13], -v[18:19]
	s_delay_alu instid0(VALU_DEP_1) | instskip(SKIP_1) | instid1(VALU_DEP_1)
	v_add_f64 v[2:3], v[20:21], v[2:3]
	v_mul_f64 v[20:21], v[146:147], s[48:49]
	v_fma_f64 v[104:105], v[142:143], s[12:13], v[20:21]
	s_delay_alu instid0(VALU_DEP_1) | instskip(SKIP_3) | instid1(VALU_DEP_1)
	v_add_f64 v[4:5], v[104:105], v[4:5]
	v_mul_f64 v[104:105], v[176:177], s[28:29]
	scratch_load_b64 v[176:177], off, off offset:96 ; 8-byte Folded Reload
	v_fma_f64 v[106:107], v[148:149], s[20:21], -v[104:105]
	v_add_f64 v[2:3], v[106:107], v[2:3]
	v_mul_f64 v[106:107], v[212:213], s[28:29]
	scratch_load_b64 v[213:214], off, off offset:8 ; 8-byte Folded Reload
	v_fma_f64 v[108:109], v[150:151], s[20:21], v[106:107]
	s_delay_alu instid0(VALU_DEP_1) | instskip(SKIP_1) | instid1(VALU_DEP_1)
	v_add_f64 v[4:5], v[108:109], v[4:5]
	v_fma_f64 v[108:109], v[152:153], s[14:15], -v[116:117]
	v_add_f64 v[2:3], v[108:109], v[2:3]
	v_fma_f64 v[108:109], v[154:155], s[14:15], v[118:119]
	s_delay_alu instid0(VALU_DEP_1) | instskip(SKIP_1) | instid1(VALU_DEP_1)
	v_add_f64 v[4:5], v[108:109], v[4:5]
	v_fma_f64 v[108:109], v[160:161], s[18:19], -v[126:127]
	v_add_f64 v[2:3], v[108:109], v[2:3]
	v_fma_f64 v[108:109], v[162:163], s[18:19], v[138:139]
	s_delay_alu instid0(VALU_DEP_1)
	v_add_f64 v[4:5], v[108:109], v[4:5]
	v_fma_f64 v[108:109], v[172:173], s[16:17], -v[10:11]
	v_fma_f64 v[10:11], v[172:173], s[16:17], v[10:11]
	scratch_load_b64 v[172:173], off, off offset:80 ; 8-byte Folded Reload
	v_add_f64 v[108:109], v[108:109], v[2:3]
	v_fma_f64 v[2:3], v[174:175], s[16:17], v[8:9]
	v_fma_f64 v[8:9], v[174:175], s[16:17], -v[8:9]
	scratch_load_b64 v[174:175], off, off offset:208 ; 8-byte Folded Reload
	v_add_f64 v[110:111], v[2:3], v[4:5]
	s_clause 0x1
	scratch_load_b64 v[2:3], off, off offset:2064
	scratch_load_b64 v[4:5], off, off offset:2072
	s_waitcnt vmcnt(1)
	v_add_f64 v[2:3], v[2:3], v[238:239]
	s_waitcnt vmcnt(0)
	v_add_f64 v[4:5], v[4:5], v[226:227]
	scratch_load_b64 v[226:227], off, off offset:2040 ; 8-byte Folded Reload
	v_add_f64 v[2:3], v[2:3], v[210:211]
	v_add_f64 v[4:5], v[4:5], v[254:255]
	scratch_load_b64 v[211:212], off, off offset:272 ; 8-byte Folded Reload
	v_add_f64 v[2:3], v[2:3], v[6:7]
	;; [unrolled: 3-line block ×3, first 2 shown]
	v_add_f64 v[4:5], v[4:5], v[94:95]
	s_delay_alu instid0(VALU_DEP_2) | instskip(NEXT) | instid1(VALU_DEP_2)
	v_add_f64 v[2:3], v[2:3], v[96:97]
	v_add_f64 v[4:5], v[4:5], v[98:99]
	s_delay_alu instid0(VALU_DEP_2) | instskip(NEXT) | instid1(VALU_DEP_2)
	v_add_f64 v[2:3], v[2:3], v[90:91]
	;; [unrolled: 3-line block ×10, first 2 shown]
	v_add_f64 v[6:7], v[4:5], v[186:187]
	scratch_load_b64 v[186:187], off, off offset:32 ; 8-byte Folded Reload
	v_add_f64 v[4:5], v[2:3], v[180:181]
	v_fma_f64 v[2:3], v[114:115], s[0:1], -v[12:13]
	v_fma_f64 v[12:13], v[120:121], s[26:27], v[14:15]
	v_fma_f64 v[14:15], v[122:123], s[26:27], -v[16:17]
	scratch_load_b64 v[16:17], off, off offset:2048 ; 8-byte Folded Reload
	v_add_f64 v[6:7], v[6:7], v[182:183]
	s_clause 0x1
	scratch_load_b64 v[182:183], off, off offset:48
	scratch_load_b64 v[180:181], off, off offset:256
	s_waitcnt vmcnt(2)
	v_add_f64 v[0:1], v[0:1], v[16:17]
	scratch_load_b64 v[16:17], off, off offset:2056 ; 8-byte Folded Reload
	v_add_f64 v[0:1], v[12:13], v[0:1]
	v_fma_f64 v[12:13], v[148:149], s[20:21], v[104:105]
	s_waitcnt vmcnt(0)
	v_add_f64 v[2:3], v[2:3], v[16:17]
	v_fma_f64 v[16:17], v[140:141], s[12:13], v[18:19]
	v_fma_f64 v[18:19], v[142:143], s[12:13], -v[20:21]
	s_delay_alu instid0(VALU_DEP_3) | instskip(SKIP_1) | instid1(VALU_DEP_4)
	v_add_f64 v[2:3], v[14:15], v[2:3]
	v_fma_f64 v[14:15], v[150:151], s[20:21], -v[106:107]
	v_add_f64 v[0:1], v[16:17], v[0:1]
	v_fma_f64 v[16:17], v[152:153], s[14:15], v[116:117]
	s_delay_alu instid0(VALU_DEP_4) | instskip(SKIP_1) | instid1(VALU_DEP_4)
	v_add_f64 v[2:3], v[18:19], v[2:3]
	v_fma_f64 v[18:19], v[154:155], s[14:15], -v[118:119]
	v_add_f64 v[0:1], v[12:13], v[0:1]
	v_fma_f64 v[12:13], v[160:161], s[18:19], v[126:127]
	s_delay_alu instid0(VALU_DEP_4) | instskip(SKIP_1) | instid1(VALU_DEP_4)
	v_add_f64 v[2:3], v[14:15], v[2:3]
	v_fma_f64 v[14:15], v[162:163], s[18:19], -v[138:139]
	v_add_f64 v[0:1], v[16:17], v[0:1]
	s_delay_alu instid0(VALU_DEP_3) | instskip(NEXT) | instid1(VALU_DEP_2)
	v_add_f64 v[2:3], v[18:19], v[2:3]
	v_add_f64 v[0:1], v[12:13], v[0:1]
	;; [unrolled: 1-line block ×3, first 2 shown]
	s_delay_alu instid0(VALU_DEP_3) | instskip(SKIP_1) | instid1(VALU_DEP_4)
	v_add_f64 v[2:3], v[14:15], v[2:3]
	v_add_f64 v[14:15], v[204:205], -v[136:137]
	v_add_f64 v[0:1], v[10:11], v[0:1]
	v_add_f64 v[10:11], v[34:35], v[206:207]
	s_delay_alu instid0(VALU_DEP_4) | instskip(SKIP_2) | instid1(VALU_DEP_4)
	v_add_f64 v[2:3], v[8:9], v[2:3]
	v_add_f64 v[8:9], v[32:33], v[204:205]
	v_mul_f64 v[90:91], v[14:15], s[36:37]
	v_add_f64 v[10:11], v[10:11], v[188:189]
	v_mul_f64 v[88:89], v[14:15], s[42:43]
	v_mul_f64 v[96:97], v[14:15], s[22:23]
	;; [unrolled: 1-line block ×4, first 2 shown]
	v_add_f64 v[8:9], v[8:9], v[190:191]
	v_add_f64 v[10:11], v[10:11], v[250:251]
	s_delay_alu instid0(VALU_DEP_2) | instskip(NEXT) | instid1(VALU_DEP_2)
	v_add_f64 v[8:9], v[8:9], v[248:249]
	v_add_f64 v[10:11], v[10:11], v[186:187]
	s_delay_alu instid0(VALU_DEP_2) | instskip(NEXT) | instid1(VALU_DEP_2)
	;; [unrolled: 3-line block ×13, first 2 shown]
	v_add_f64 v[8:9], v[8:9], v[134:135]
	v_add_f64 v[114:115], v[10:11], v[124:125]
	;; [unrolled: 1-line block ×3, first 2 shown]
	s_delay_alu instid0(VALU_DEP_3) | instskip(SKIP_1) | instid1(VALU_DEP_3)
	v_add_f64 v[112:113], v[8:9], v[136:137]
	v_add_f64 v[8:9], v[206:207], -v[124:125]
	v_fma_f64 v[118:119], v[10:11], s[16:17], v[90:91]
	v_fma_f64 v[90:91], v[10:11], s[16:17], -v[90:91]
	v_fma_f64 v[116:117], v[10:11], s[14:15], v[88:89]
	v_fma_f64 v[88:89], v[10:11], s[14:15], -v[88:89]
	;; [unrolled: 2-line block ×5, first 2 shown]
	v_mul_f64 v[72:73], v[8:9], s[28:29]
	v_mul_f64 v[16:17], v[8:9], s[24:25]
	;; [unrolled: 1-line block ×8, first 2 shown]
	v_add_f64 v[124:125], v[34:35], v[90:91]
	v_add_f64 v[140:141], v[34:35], v[118:119]
	;; [unrolled: 1-line block ×8, first 2 shown]
	v_fma_f64 v[86:87], v[12:13], s[20:21], -v[72:73]
	v_fma_f64 v[72:73], v[12:13], s[20:21], v[72:73]
	v_fma_f64 v[76:77], v[12:13], s[0:1], -v[16:17]
	v_fma_f64 v[16:17], v[12:13], s[0:1], v[16:17]
	v_fma_f64 v[78:79], v[12:13], s[12:13], -v[18:19]
	v_fma_f64 v[18:19], v[12:13], s[12:13], v[18:19]
	v_fma_f64 v[80:81], v[12:13], s[14:15], -v[20:21]
	v_fma_f64 v[20:21], v[12:13], s[14:15], v[20:21]
	v_fma_f64 v[82:83], v[12:13], s[16:17], -v[68:69]
	v_fma_f64 v[68:69], v[12:13], s[16:17], v[68:69]
	v_fma_f64 v[84:85], v[12:13], s[18:19], -v[70:71]
	v_fma_f64 v[70:71], v[12:13], s[18:19], v[70:71]
	v_fma_f64 v[92:93], v[12:13], s[26:27], -v[74:75]
	v_fma_f64 v[74:75], v[12:13], s[26:27], v[74:75]
	v_fma_f64 v[94:95], v[12:13], s[30:31], -v[8:9]
	v_fma_f64 v[100:101], v[12:13], s[30:31], v[8:9]
	v_mul_f64 v[8:9], v[14:15], s[24:25]
	v_mul_f64 v[12:13], v[14:15], s[40:41]
	;; [unrolled: 1-line block ×3, first 2 shown]
	v_add_f64 v[98:99], v[32:33], v[86:87]
	v_add_f64 v[90:91], v[32:33], v[72:73]
	v_add_f64 v[72:73], v[188:189], -v[22:23]
	v_add_f64 v[158:159], v[32:33], v[76:77]
	v_add_f64 v[170:171], v[32:33], v[78:79]
	;; [unrolled: 1-line block ×12, first 2 shown]
	v_add_f64 v[70:71], v[190:191], -v[134:135]
	v_fma_f64 v[104:105], v[10:11], s[0:1], v[8:9]
	v_fma_f64 v[8:9], v[10:11], s[0:1], -v[8:9]
	v_fma_f64 v[106:107], v[10:11], s[12:13], v[12:13]
	v_fma_f64 v[12:13], v[10:11], s[12:13], -v[12:13]
	;; [unrolled: 2-line block ×3, first 2 shown]
	v_add_f64 v[10:11], v[32:33], v[16:17]
	v_add_f64 v[14:15], v[32:33], v[94:95]
	;; [unrolled: 1-line block ×6, first 2 shown]
	v_add_f64 v[86:87], v[250:251], -v[128:129]
	v_add_f64 v[78:79], v[248:249], v[132:133]
	v_add_f64 v[84:85], v[248:249], -v[132:133]
	v_dual_mov_b32 v148, v172 :: v_dual_mov_b32 v149, v173
	v_dual_mov_b32 v132, v182 :: v_dual_mov_b32 v133, v183
	v_mul_f64 v[32:33], v[72:73], s[40:41]
	v_add_f64 v[104:105], v[34:35], v[104:105]
	v_add_f64 v[8:9], v[34:35], v[8:9]
	v_add_f64 v[168:169], v[34:35], v[106:107]
	v_add_f64 v[160:161], v[34:35], v[12:13]
	v_add_f64 v[12:13], v[34:35], v[150:151]
	v_add_f64 v[18:19], v[34:35], v[156:157]
	v_mul_f64 v[34:35], v[70:71], s[40:41]
	v_mul_f64 v[184:185], v[84:85], s[42:43]
	v_fma_f64 v[20:21], v[68:69], s[12:13], -v[32:33]
	v_fma_f64 v[32:33], v[68:69], s[12:13], v[32:33]
	s_delay_alu instid0(VALU_DEP_2) | instskip(SKIP_2) | instid1(VALU_DEP_4)
	v_add_f64 v[92:93], v[20:21], v[158:159]
	v_fma_f64 v[20:21], v[22:23], s[12:13], v[34:35]
	v_dual_mov_b32 v158, v178 :: v_dual_mov_b32 v159, v179
	v_add_f64 v[10:11], v[32:33], v[10:11]
	v_fma_f64 v[32:33], v[22:23], s[12:13], -v[34:35]
	v_add_f64 v[178:179], v[36:37], -v[40:41]
	v_add_f64 v[94:95], v[20:21], v[104:105]
	v_mul_f64 v[104:105], v[86:87], s[42:43]
	v_add_f64 v[20:21], v[250:251], v[128:129]
	v_add_f64 v[8:9], v[32:33], v[8:9]
	v_mul_f64 v[206:207], v[178:179], s[38:39]
	s_delay_alu instid0(VALU_DEP_4) | instskip(SKIP_2) | instid1(VALU_DEP_3)
	v_fma_f64 v[100:101], v[78:79], s[14:15], -v[104:105]
	v_fma_f64 v[32:33], v[78:79], s[14:15], v[104:105]
	v_mul_f64 v[104:105], v[70:71], s[36:37]
	v_add_f64 v[106:107], v[100:101], v[92:93]
	v_fma_f64 v[92:93], v[20:21], s[14:15], v[184:185]
	v_dual_mov_b32 v100, v130 :: v_dual_mov_b32 v101, v131
	v_add_f64 v[10:11], v[32:33], v[10:11]
	v_fma_f64 v[32:33], v[20:21], s[14:15], -v[184:185]
	v_mul_f64 v[184:185], v[86:87], s[28:29]
	v_add_f64 v[128:129], v[92:93], v[94:95]
	v_dual_mov_b32 v92, v186 :: v_dual_mov_b32 v93, v187
	v_add_f64 v[94:95], v[100:101], v[236:237]
	v_add_f64 v[100:101], v[100:101], -v[236:237]
	v_add_f64 v[8:9], v[32:33], v[8:9]
	s_delay_alu instid0(VALU_DEP_4) | instskip(SKIP_1) | instid1(VALU_DEP_4)
	v_add_f64 v[102:103], v[92:93], -v[234:235]
	v_add_f64 v[92:93], v[92:93], v[234:235]
	v_mul_f64 v[188:189], v[100:101], s[36:37]
	s_delay_alu instid0(VALU_DEP_3) | instskip(NEXT) | instid1(VALU_DEP_1)
	v_mul_f64 v[186:187], v[102:103], s[36:37]
	v_fma_f64 v[130:131], v[94:95], s[16:17], -v[186:187]
	v_fma_f64 v[32:33], v[94:95], s[16:17], v[186:187]
	v_mul_f64 v[186:187], v[84:85], s[28:29]
	s_delay_alu instid0(VALU_DEP_3) | instskip(SKIP_1) | instid1(VALU_DEP_4)
	v_add_f64 v[106:107], v[130:131], v[106:107]
	v_fma_f64 v[130:131], v[92:93], s[16:17], v[188:189]
	v_add_f64 v[10:11], v[32:33], v[10:11]
	v_fma_f64 v[32:33], v[92:93], s[16:17], -v[188:189]
	v_mul_f64 v[188:189], v[102:103], s[38:39]
	s_delay_alu instid0(VALU_DEP_4) | instskip(SKIP_4) | instid1(VALU_DEP_4)
	v_add_f64 v[136:137], v[130:131], v[128:129]
	v_dual_mov_b32 v128, v194 :: v_dual_mov_b32 v129, v195
	v_add_f64 v[130:131], v[132:133], v[244:245]
	v_add_f64 v[132:133], v[132:133], -v[244:245]
	v_add_f64 v[8:9], v[32:33], v[8:9]
	v_add_f64 v[134:135], v[128:129], -v[246:247]
	v_add_f64 v[128:129], v[128:129], v[246:247]
	s_delay_alu instid0(VALU_DEP_4) | instskip(NEXT) | instid1(VALU_DEP_3)
	v_mul_f64 v[196:197], v[132:133], s[22:23]
	v_mul_f64 v[190:191], v[134:135], s[22:23]
	s_delay_alu instid0(VALU_DEP_1) | instskip(SKIP_2) | instid1(VALU_DEP_3)
	v_fma_f64 v[138:139], v[130:131], s[18:19], -v[190:191]
	v_fma_f64 v[32:33], v[130:131], s[18:19], v[190:191]
	v_mul_f64 v[190:191], v[100:101], s[38:39]
	v_add_f64 v[106:107], v[138:139], v[106:107]
	v_fma_f64 v[138:139], v[128:129], s[18:19], v[196:197]
	s_delay_alu instid0(VALU_DEP_4) | instskip(SKIP_2) | instid1(VALU_DEP_4)
	v_add_f64 v[10:11], v[32:33], v[10:11]
	v_fma_f64 v[32:33], v[128:129], s[18:19], -v[196:197]
	v_mul_f64 v[196:197], v[134:135], s[54:55]
	v_add_f64 v[156:157], v[138:139], v[136:137]
	v_mov_b32_e32 v136, v176
	v_dual_mov_b32 v138, v180 :: v_dual_mov_b32 v137, v177
	v_mov_b32_e32 v139, v181
	v_add_f64 v[8:9], v[32:33], v[8:9]
	s_delay_alu instid0(VALU_DEP_2) | instskip(SKIP_3) | instid1(VALU_DEP_4)
	v_add_f64 v[150:151], v[136:137], -v[138:139]
	v_add_f64 v[136:137], v[136:137], v[138:139]
	v_add_f64 v[138:139], v[148:149], v[158:159]
	v_add_f64 v[148:149], v[148:149], -v[158:159]
	v_mul_f64 v[198:199], v[150:151], s[28:29]
	s_delay_alu instid0(VALU_DEP_2) | instskip(NEXT) | instid1(VALU_DEP_2)
	v_mul_f64 v[200:201], v[148:149], s[28:29]
	v_fma_f64 v[158:159], v[138:139], s[20:21], -v[198:199]
	v_fma_f64 v[32:33], v[138:139], s[20:21], v[198:199]
	v_mul_f64 v[198:199], v[132:133], s[54:55]
	s_delay_alu instid0(VALU_DEP_3) | instskip(SKIP_1) | instid1(VALU_DEP_4)
	v_add_f64 v[106:107], v[158:159], v[106:107]
	v_fma_f64 v[158:159], v[136:137], s[20:21], v[200:201]
	v_add_f64 v[10:11], v[32:33], v[10:11]
	v_fma_f64 v[32:33], v[136:137], s[20:21], -v[200:201]
	v_mul_f64 v[200:201], v[150:151], s[50:51]
	s_delay_alu instid0(VALU_DEP_4)
	v_add_f64 v[172:173], v[158:159], v[156:157]
	v_mov_b32_e32 v156, v164
	v_dual_mov_b32 v158, v166 :: v_dual_mov_b32 v157, v165
	v_dual_mov_b32 v159, v167 :: v_dual_mov_b32 v164, v174
	v_mov_b32_e32 v165, v175
	v_add_f64 v[8:9], v[32:33], v[8:9]
	s_delay_alu instid0(VALU_DEP_3) | instskip(SKIP_1) | instid1(VALU_DEP_4)
	v_add_f64 v[166:167], v[156:157], -v[158:159]
	v_add_f64 v[156:157], v[156:157], v[158:159]
	v_add_f64 v[158:159], v[42:43], v[164:165]
	v_add_f64 v[164:165], v[42:43], -v[164:165]
	s_delay_alu instid0(VALU_DEP_4) | instskip(NEXT) | instid1(VALU_DEP_2)
	v_mul_f64 v[202:203], v[166:167], s[34:35]
	v_mul_f64 v[204:205], v[164:165], s[34:35]
	s_delay_alu instid0(VALU_DEP_2) | instskip(SKIP_2) | instid1(VALU_DEP_3)
	v_fma_f64 v[174:175], v[158:159], s[26:27], -v[202:203]
	v_fma_f64 v[32:33], v[158:159], s[26:27], v[202:203]
	v_mul_f64 v[202:203], v[148:149], s[50:51]
	v_add_f64 v[106:107], v[174:175], v[106:107]
	v_fma_f64 v[174:175], v[156:157], s[26:27], v[204:205]
	s_delay_alu instid0(VALU_DEP_4) | instskip(SKIP_2) | instid1(VALU_DEP_4)
	v_add_f64 v[10:11], v[32:33], v[10:11]
	v_fma_f64 v[32:33], v[156:157], s[26:27], -v[204:205]
	v_mul_f64 v[204:205], v[166:167], s[44:45]
	v_add_f64 v[182:183], v[174:175], v[172:173]
	v_add_f64 v[172:173], v[36:37], v[40:41]
	v_dual_mov_b32 v36, v38 :: v_dual_mov_b32 v37, v39
	v_add_f64 v[8:9], v[32:33], v[8:9]
	s_delay_alu instid0(VALU_DEP_2) | instskip(SKIP_1) | instid1(VALU_DEP_2)
	v_add_f64 v[174:175], v[30:31], v[36:37]
	v_add_f64 v[176:177], v[30:31], -v[36:37]
	v_fma_f64 v[180:181], v[174:175], s[30:31], -v[206:207]
	v_fma_f64 v[32:33], v[174:175], s[30:31], v[206:207]
	v_mul_f64 v[206:207], v[164:165], s[44:45]
	s_delay_alu instid0(VALU_DEP_3) | instskip(SKIP_1) | instid1(VALU_DEP_4)
	v_add_f64 v[180:181], v[180:181], v[106:107]
	v_mul_f64 v[106:107], v[176:177], s[38:39]
	v_add_f64 v[32:33], v[32:33], v[10:11]
	s_delay_alu instid0(VALU_DEP_2) | instskip(SKIP_3) | instid1(VALU_DEP_4)
	v_fma_f64 v[34:35], v[172:173], s[30:31], -v[106:107]
	v_fma_f64 v[208:209], v[172:173], s[30:31], v[106:107]
	v_fma_f64 v[106:107], v[22:23], s[16:17], v[104:105]
	v_fma_f64 v[104:105], v[22:23], s[16:17], -v[104:105]
	v_add_f64 v[34:35], v[34:35], v[8:9]
	v_mul_f64 v[8:9], v[72:73], s[36:37]
	s_delay_alu instid0(VALU_DEP_4)
	v_add_f64 v[106:107], v[106:107], v[168:169]
	v_fma_f64 v[168:169], v[78:79], s[20:21], -v[184:185]
	v_add_f64 v[182:183], v[208:209], v[182:183]
	v_mul_f64 v[208:209], v[178:179], s[46:47]
	v_add_f64 v[104:105], v[104:105], v[160:161]
	v_fma_f64 v[10:11], v[68:69], s[16:17], -v[8:9]
	v_fma_f64 v[8:9], v[68:69], s[16:17], v[8:9]
	s_delay_alu instid0(VALU_DEP_2) | instskip(NEXT) | instid1(VALU_DEP_2)
	v_add_f64 v[10:11], v[10:11], v[170:171]
	v_add_f64 v[8:9], v[8:9], v[162:163]
	s_delay_alu instid0(VALU_DEP_2) | instskip(SKIP_1) | instid1(VALU_DEP_1)
	v_add_f64 v[10:11], v[168:169], v[10:11]
	v_fma_f64 v[168:169], v[20:21], s[20:21], v[186:187]
	v_add_f64 v[106:107], v[168:169], v[106:107]
	v_fma_f64 v[168:169], v[94:95], s[30:31], -v[188:189]
	s_delay_alu instid0(VALU_DEP_1) | instskip(SKIP_1) | instid1(VALU_DEP_1)
	v_add_f64 v[10:11], v[168:169], v[10:11]
	v_fma_f64 v[168:169], v[92:93], s[30:31], v[190:191]
	v_add_f64 v[106:107], v[168:169], v[106:107]
	v_fma_f64 v[168:169], v[130:131], s[26:27], -v[196:197]
	s_delay_alu instid0(VALU_DEP_1) | instskip(SKIP_1) | instid1(VALU_DEP_1)
	;; [unrolled: 5-line block ×5, first 2 shown]
	v_add_f64 v[168:169], v[168:169], v[10:11]
	v_mul_f64 v[10:11], v[176:177], s[46:47]
	v_fma_f64 v[170:171], v[172:173], s[0:1], v[10:11]
	v_fma_f64 v[10:11], v[172:173], s[0:1], -v[10:11]
	s_delay_alu instid0(VALU_DEP_2) | instskip(SKIP_1) | instid1(VALU_DEP_1)
	v_add_f64 v[170:171], v[170:171], v[106:107]
	v_fma_f64 v[106:107], v[78:79], s[20:21], v[184:185]
	v_add_f64 v[8:9], v[106:107], v[8:9]
	v_fma_f64 v[106:107], v[20:21], s[20:21], -v[186:187]
	s_delay_alu instid0(VALU_DEP_1) | instskip(SKIP_1) | instid1(VALU_DEP_1)
	v_add_f64 v[104:105], v[106:107], v[104:105]
	v_fma_f64 v[106:107], v[94:95], s[30:31], v[188:189]
	v_add_f64 v[8:9], v[106:107], v[8:9]
	v_fma_f64 v[106:107], v[92:93], s[30:31], -v[190:191]
	s_delay_alu instid0(VALU_DEP_1) | instskip(SKIP_1) | instid1(VALU_DEP_1)
	;; [unrolled: 5-line block ×4, first 2 shown]
	v_add_f64 v[104:105], v[106:107], v[104:105]
	v_fma_f64 v[106:107], v[158:159], s[14:15], v[204:205]
	v_add_f64 v[8:9], v[106:107], v[8:9]
	v_fma_f64 v[106:107], v[156:157], s[14:15], -v[206:207]
	s_delay_alu instid0(VALU_DEP_1)
	v_add_f64 v[104:105], v[106:107], v[104:105]
	v_fma_f64 v[106:107], v[174:175], s[0:1], v[208:209]
	s_clause 0x3
	scratch_load_b64 v[209:210], off, off offset:2032
	scratch_load_b32 v208, off, off offset:4
	scratch_load_b64 v[36:37], off, off offset:416
	scratch_load_b64 v[30:31], off, off offset:400
	scratch_store_b64 off, v[219:220], off offset:2048 ; 8-byte Folded Spill
	s_clause 0x1
	scratch_load_b64 v[40:41], off, off offset:448
	scratch_load_b64 v[38:39], off, off offset:432
	v_add_f64 v[162:163], v[10:11], v[104:105]
	v_mul_f64 v[104:105], v[70:71], s[28:29]
	v_add_f64 v[160:161], v[106:107], v[8:9]
	v_mul_f64 v[8:9], v[72:73], s[28:29]
	s_delay_alu instid0(VALU_DEP_3) | instskip(SKIP_1) | instid1(VALU_DEP_3)
	v_fma_f64 v[106:107], v[22:23], s[20:21], v[104:105]
	v_fma_f64 v[104:105], v[22:23], s[20:21], -v[104:105]
	v_fma_f64 v[10:11], v[68:69], s[20:21], -v[8:9]
	v_fma_f64 v[8:9], v[68:69], s[20:21], v[8:9]
	s_delay_alu instid0(VALU_DEP_4) | instskip(SKIP_1) | instid1(VALU_DEP_4)
	v_add_f64 v[106:107], v[106:107], v[152:153]
	v_mul_f64 v[152:153], v[86:87], s[58:59]
	v_add_f64 v[10:11], v[10:11], v[154:155]
	s_delay_alu instid0(VALU_DEP_4) | instskip(SKIP_1) | instid1(VALU_DEP_4)
	v_add_f64 v[8:9], v[8:9], v[146:147]
	v_add_f64 v[104:105], v[104:105], v[144:145]
	v_fma_f64 v[154:155], v[78:79], s[30:31], -v[152:153]
	s_delay_alu instid0(VALU_DEP_1) | instskip(SKIP_1) | instid1(VALU_DEP_1)
	v_add_f64 v[10:11], v[154:155], v[10:11]
	v_mul_f64 v[154:155], v[84:85], s[58:59]
	v_fma_f64 v[184:185], v[20:21], s[30:31], v[154:155]
	s_delay_alu instid0(VALU_DEP_1) | instskip(SKIP_1) | instid1(VALU_DEP_1)
	v_add_f64 v[106:107], v[184:185], v[106:107]
	v_mul_f64 v[184:185], v[102:103], s[50:51]
	v_fma_f64 v[186:187], v[94:95], s[18:19], -v[184:185]
	s_delay_alu instid0(VALU_DEP_1) | instskip(SKIP_1) | instid1(VALU_DEP_1)
	v_add_f64 v[10:11], v[186:187], v[10:11]
	v_mul_f64 v[186:187], v[100:101], s[50:51]
	v_fma_f64 v[188:189], v[92:93], s[18:19], v[186:187]
	s_delay_alu instid0(VALU_DEP_1) | instskip(SKIP_1) | instid1(VALU_DEP_1)
	v_add_f64 v[106:107], v[188:189], v[106:107]
	v_mul_f64 v[188:189], v[134:135], s[48:49]
	;; [unrolled: 8-line block ×5, first 2 shown]
	v_fma_f64 v[206:207], v[174:175], s[26:27], -v[204:205]
	s_delay_alu instid0(VALU_DEP_1) | instskip(SKIP_1) | instid1(VALU_DEP_1)
	v_add_f64 v[221:222], v[206:207], v[10:11]
	v_mul_f64 v[10:11], v[176:177], s[34:35]
	v_fma_f64 v[206:207], v[172:173], s[26:27], v[10:11]
	v_fma_f64 v[10:11], v[172:173], s[26:27], -v[10:11]
	s_delay_alu instid0(VALU_DEP_2) | instskip(SKIP_4) | instid1(VALU_DEP_1)
	v_add_f64 v[223:224], v[206:207], v[106:107]
	v_fma_f64 v[106:107], v[78:79], s[30:31], v[152:153]
	scratch_load_b64 v[206:207], off, off offset:2024 ; 8-byte Folded Reload
	v_add_f64 v[8:9], v[106:107], v[8:9]
	v_fma_f64 v[106:107], v[20:21], s[30:31], -v[154:155]
	v_add_f64 v[104:105], v[106:107], v[104:105]
	v_fma_f64 v[106:107], v[94:95], s[18:19], v[184:185]
	s_delay_alu instid0(VALU_DEP_1) | instskip(SKIP_1) | instid1(VALU_DEP_1)
	v_add_f64 v[8:9], v[106:107], v[8:9]
	v_fma_f64 v[106:107], v[92:93], s[18:19], -v[186:187]
	v_add_f64 v[104:105], v[106:107], v[104:105]
	v_fma_f64 v[106:107], v[130:131], s[12:13], v[188:189]
	s_delay_alu instid0(VALU_DEP_1) | instskip(SKIP_1) | instid1(VALU_DEP_1)
	v_add_f64 v[8:9], v[106:107], v[8:9]
	v_fma_f64 v[106:107], v[128:129], s[12:13], -v[190:191]
	v_add_f64 v[104:105], v[106:107], v[104:105]
	v_fma_f64 v[106:107], v[138:139], s[0:1], v[196:197]
	s_delay_alu instid0(VALU_DEP_1) | instskip(SKIP_1) | instid1(VALU_DEP_1)
	v_add_f64 v[8:9], v[106:107], v[8:9]
	v_fma_f64 v[106:107], v[136:137], s[0:1], -v[198:199]
	v_add_f64 v[104:105], v[106:107], v[104:105]
	v_fma_f64 v[106:107], v[158:159], s[16:17], v[200:201]
	s_delay_alu instid0(VALU_DEP_1) | instskip(SKIP_1) | instid1(VALU_DEP_1)
	v_add_f64 v[8:9], v[106:107], v[8:9]
	v_fma_f64 v[106:107], v[156:157], s[16:17], -v[202:203]
	v_add_f64 v[104:105], v[106:107], v[104:105]
	v_fma_f64 v[106:107], v[174:175], s[26:27], v[204:205]
	scratch_load_b64 v[204:205], off, off offset:2016 ; 8-byte Folded Reload
	v_add_f64 v[154:155], v[10:11], v[104:105]
	v_mul_f64 v[104:105], v[70:71], s[38:39]
	v_add_f64 v[152:153], v[106:107], v[8:9]
	v_mul_f64 v[8:9], v[72:73], s[38:39]
	s_delay_alu instid0(VALU_DEP_3) | instskip(SKIP_1) | instid1(VALU_DEP_3)
	v_fma_f64 v[106:107], v[22:23], s[30:31], v[104:105]
	v_fma_f64 v[104:105], v[22:23], s[30:31], -v[104:105]
	v_fma_f64 v[10:11], v[68:69], s[30:31], -v[8:9]
	v_fma_f64 v[8:9], v[68:69], s[30:31], v[8:9]
	s_delay_alu instid0(VALU_DEP_4) | instskip(SKIP_1) | instid1(VALU_DEP_4)
	v_add_f64 v[106:107], v[106:107], v[140:141]
	v_mul_f64 v[140:141], v[86:87], s[50:51]
	v_add_f64 v[10:11], v[10:11], v[142:143]
	s_delay_alu instid0(VALU_DEP_4) | instskip(SKIP_1) | instid1(VALU_DEP_4)
	v_add_f64 v[8:9], v[8:9], v[126:127]
	v_add_f64 v[104:105], v[104:105], v[124:125]
	v_fma_f64 v[142:143], v[78:79], s[18:19], -v[140:141]
	s_delay_alu instid0(VALU_DEP_1) | instskip(SKIP_1) | instid1(VALU_DEP_1)
	v_add_f64 v[10:11], v[142:143], v[10:11]
	v_mul_f64 v[142:143], v[84:85], s[50:51]
	v_fma_f64 v[144:145], v[20:21], s[18:19], v[142:143]
	s_delay_alu instid0(VALU_DEP_1) | instskip(SKIP_1) | instid1(VALU_DEP_1)
	v_add_f64 v[106:107], v[144:145], v[106:107]
	v_mul_f64 v[144:145], v[102:103], s[46:47]
	v_fma_f64 v[146:147], v[94:95], s[0:1], -v[144:145]
	s_delay_alu instid0(VALU_DEP_1) | instskip(SKIP_1) | instid1(VALU_DEP_1)
	v_add_f64 v[10:11], v[146:147], v[10:11]
	v_mul_f64 v[146:147], v[100:101], s[46:47]
	v_fma_f64 v[184:185], v[92:93], s[0:1], v[146:147]
	s_delay_alu instid0(VALU_DEP_1) | instskip(SKIP_1) | instid1(VALU_DEP_1)
	v_add_f64 v[106:107], v[184:185], v[106:107]
	v_mul_f64 v[184:185], v[134:135], s[42:43]
	;; [unrolled: 8-line block ×5, first 2 shown]
	v_fma_f64 v[202:203], v[174:175], s[12:13], -v[200:201]
	s_delay_alu instid0(VALU_DEP_1) | instskip(SKIP_1) | instid1(VALU_DEP_1)
	v_add_f64 v[236:237], v[202:203], v[10:11]
	v_mul_f64 v[10:11], v[176:177], s[48:49]
	v_fma_f64 v[202:203], v[172:173], s[12:13], v[10:11]
	v_fma_f64 v[10:11], v[172:173], s[12:13], -v[10:11]
	s_delay_alu instid0(VALU_DEP_2) | instskip(SKIP_1) | instid1(VALU_DEP_1)
	v_add_f64 v[238:239], v[202:203], v[106:107]
	v_fma_f64 v[106:107], v[78:79], s[18:19], v[140:141]
	v_add_f64 v[8:9], v[106:107], v[8:9]
	v_fma_f64 v[106:107], v[20:21], s[18:19], -v[142:143]
	s_delay_alu instid0(VALU_DEP_1) | instskip(SKIP_1) | instid1(VALU_DEP_1)
	v_add_f64 v[104:105], v[106:107], v[104:105]
	v_fma_f64 v[106:107], v[94:95], s[0:1], v[144:145]
	v_add_f64 v[8:9], v[106:107], v[8:9]
	v_fma_f64 v[106:107], v[92:93], s[0:1], -v[146:147]
	s_delay_alu instid0(VALU_DEP_1) | instskip(SKIP_1) | instid1(VALU_DEP_1)
	;; [unrolled: 5-line block ×3, first 2 shown]
	v_add_f64 v[104:105], v[106:107], v[104:105]
	v_fma_f64 v[106:107], v[138:139], s[26:27], v[188:189]
	v_add_f64 v[8:9], v[106:107], v[8:9]
	v_fma_f64 v[106:107], v[136:137], s[26:27], -v[190:191]
	s_delay_alu instid0(VALU_DEP_1) | instskip(SKIP_2) | instid1(VALU_DEP_2)
	v_add_f64 v[104:105], v[106:107], v[104:105]
	v_fma_f64 v[106:107], v[158:159], s[20:21], v[196:197]
	v_dual_mov_b32 v197, v193 :: v_dual_mov_b32 v196, v192
	v_add_f64 v[8:9], v[106:107], v[8:9]
	v_fma_f64 v[106:107], v[156:157], s[20:21], -v[198:199]
	s_delay_alu instid0(VALU_DEP_1) | instskip(SKIP_1) | instid1(VALU_DEP_2)
	v_add_f64 v[104:105], v[106:107], v[104:105]
	v_fma_f64 v[106:107], v[174:175], s[12:13], v[200:201]
	v_add_f64 v[234:235], v[10:11], v[104:105]
	v_mul_f64 v[104:105], v[70:71], s[54:55]
	s_delay_alu instid0(VALU_DEP_3) | instskip(SKIP_1) | instid1(VALU_DEP_3)
	v_add_f64 v[232:233], v[106:107], v[8:9]
	v_mul_f64 v[8:9], v[72:73], s[54:55]
	v_fma_f64 v[106:107], v[22:23], s[26:27], v[104:105]
	v_fma_f64 v[104:105], v[22:23], s[26:27], -v[104:105]
	s_delay_alu instid0(VALU_DEP_3) | instskip(SKIP_1) | instid1(VALU_DEP_4)
	v_fma_f64 v[10:11], v[68:69], s[26:27], -v[8:9]
	v_fma_f64 v[8:9], v[68:69], s[26:27], v[8:9]
	v_add_f64 v[106:107], v[106:107], v[120:121]
	v_mul_f64 v[120:121], v[86:87], s[48:49]
	s_delay_alu instid0(VALU_DEP_4) | instskip(NEXT) | instid1(VALU_DEP_4)
	v_add_f64 v[10:11], v[10:11], v[122:123]
	v_add_f64 v[8:9], v[8:9], v[118:119]
	;; [unrolled: 1-line block ×3, first 2 shown]
	s_delay_alu instid0(VALU_DEP_4) | instskip(NEXT) | instid1(VALU_DEP_1)
	v_fma_f64 v[122:123], v[78:79], s[12:13], -v[120:121]
	v_add_f64 v[10:11], v[122:123], v[10:11]
	v_mul_f64 v[122:123], v[84:85], s[48:49]
	s_delay_alu instid0(VALU_DEP_1) | instskip(NEXT) | instid1(VALU_DEP_1)
	v_fma_f64 v[124:125], v[20:21], s[12:13], v[122:123]
	v_add_f64 v[106:107], v[124:125], v[106:107]
	v_mul_f64 v[124:125], v[102:103], s[42:43]
	s_delay_alu instid0(VALU_DEP_1) | instskip(NEXT) | instid1(VALU_DEP_1)
	v_fma_f64 v[126:127], v[94:95], s[14:15], -v[124:125]
	v_add_f64 v[10:11], v[126:127], v[10:11]
	v_mul_f64 v[126:127], v[100:101], s[42:43]
	s_delay_alu instid0(VALU_DEP_1) | instskip(NEXT) | instid1(VALU_DEP_1)
	v_fma_f64 v[140:141], v[92:93], s[14:15], v[126:127]
	v_add_f64 v[106:107], v[140:141], v[106:107]
	v_mul_f64 v[140:141], v[134:135], s[38:39]
	s_delay_alu instid0(VALU_DEP_1) | instskip(NEXT) | instid1(VALU_DEP_1)
	;; [unrolled: 8-line block ×5, first 2 shown]
	v_fma_f64 v[190:191], v[174:175], s[20:21], -v[188:189]
	v_add_f64 v[240:241], v[190:191], v[10:11]
	v_mul_f64 v[10:11], v[176:177], s[28:29]
	s_delay_alu instid0(VALU_DEP_1) | instskip(SKIP_1) | instid1(VALU_DEP_2)
	v_fma_f64 v[190:191], v[172:173], s[20:21], v[10:11]
	v_fma_f64 v[10:11], v[172:173], s[20:21], -v[10:11]
	v_add_f64 v[242:243], v[190:191], v[106:107]
	v_fma_f64 v[106:107], v[78:79], s[12:13], v[120:121]
	s_delay_alu instid0(VALU_DEP_1) | instskip(SKIP_1) | instid1(VALU_DEP_1)
	v_add_f64 v[8:9], v[106:107], v[8:9]
	v_fma_f64 v[106:107], v[20:21], s[12:13], -v[122:123]
	v_add_f64 v[104:105], v[106:107], v[104:105]
	v_fma_f64 v[106:107], v[94:95], s[14:15], v[124:125]
	s_delay_alu instid0(VALU_DEP_1) | instskip(SKIP_1) | instid1(VALU_DEP_1)
	v_add_f64 v[8:9], v[106:107], v[8:9]
	;; [unrolled: 5-line block ×5, first 2 shown]
	v_fma_f64 v[106:107], v[156:157], s[0:1], -v[186:187]
	v_add_f64 v[104:105], v[106:107], v[104:105]
	v_fma_f64 v[106:107], v[174:175], s[20:21], v[188:189]
	s_delay_alu instid0(VALU_DEP_2) | instskip(NEXT) | instid1(VALU_DEP_2)
	v_add_f64 v[246:247], v[10:11], v[104:105]
	v_add_f64 v[244:245], v[106:107], v[8:9]
	v_mul_f64 v[8:9], v[72:73], s[50:51]
	s_delay_alu instid0(VALU_DEP_1) | instskip(SKIP_1) | instid1(VALU_DEP_2)
	v_fma_f64 v[10:11], v[68:69], s[18:19], -v[8:9]
	v_fma_f64 v[8:9], v[68:69], s[18:19], v[8:9]
	v_add_f64 v[10:11], v[10:11], v[98:99]
	v_mul_f64 v[98:99], v[70:71], s[50:51]
	s_delay_alu instid0(VALU_DEP_3) | instskip(NEXT) | instid1(VALU_DEP_2)
	v_add_f64 v[8:9], v[8:9], v[90:91]
	v_fma_f64 v[104:105], v[22:23], s[18:19], v[98:99]
	v_fma_f64 v[90:91], v[22:23], s[18:19], -v[98:99]
	s_delay_alu instid0(VALU_DEP_2) | instskip(SKIP_1) | instid1(VALU_DEP_3)
	v_add_f64 v[96:97], v[104:105], v[96:97]
	v_mul_f64 v[104:105], v[86:87], s[24:25]
	v_add_f64 v[88:89], v[90:91], v[88:89]
	s_delay_alu instid0(VALU_DEP_2) | instskip(SKIP_1) | instid1(VALU_DEP_2)
	v_fma_f64 v[106:107], v[78:79], s[0:1], -v[104:105]
	v_fma_f64 v[90:91], v[78:79], s[0:1], v[104:105]
	v_add_f64 v[10:11], v[106:107], v[10:11]
	v_mul_f64 v[106:107], v[84:85], s[24:25]
	s_delay_alu instid0(VALU_DEP_3) | instskip(NEXT) | instid1(VALU_DEP_2)
	v_add_f64 v[8:9], v[90:91], v[8:9]
	v_fma_f64 v[116:117], v[20:21], s[0:1], v[106:107]
	v_fma_f64 v[90:91], v[20:21], s[0:1], -v[106:107]
	s_delay_alu instid0(VALU_DEP_2) | instskip(SKIP_1) | instid1(VALU_DEP_3)
	v_add_f64 v[96:97], v[116:117], v[96:97]
	v_mul_f64 v[116:117], v[102:103], s[34:35]
	v_add_f64 v[88:89], v[90:91], v[88:89]
	s_delay_alu instid0(VALU_DEP_2) | instskip(SKIP_1) | instid1(VALU_DEP_2)
	;; [unrolled: 13-line block ×3, first 2 shown]
	v_fma_f64 v[122:123], v[130:131], s[16:17], -v[120:121]
	v_fma_f64 v[90:91], v[130:131], s[16:17], v[120:121]
	v_add_f64 v[10:11], v[122:123], v[10:11]
	v_mul_f64 v[122:123], v[132:133], s[52:53]
	s_delay_alu instid0(VALU_DEP_3) | instskip(NEXT) | instid1(VALU_DEP_2)
	v_add_f64 v[8:9], v[90:91], v[8:9]
	v_fma_f64 v[124:125], v[128:129], s[16:17], v[122:123]
	v_fma_f64 v[90:91], v[128:129], s[16:17], -v[122:123]
	s_delay_alu instid0(VALU_DEP_2) | instskip(SKIP_1) | instid1(VALU_DEP_3)
	v_add_f64 v[96:97], v[124:125], v[96:97]
	v_mul_f64 v[124:125], v[150:151], s[40:41]
	v_add_f64 v[88:89], v[90:91], v[88:89]
	s_delay_alu instid0(VALU_DEP_2) | instskip(SKIP_2) | instid1(VALU_DEP_3)
	v_fma_f64 v[126:127], v[138:139], s[12:13], -v[124:125]
	v_fma_f64 v[90:91], v[138:139], s[12:13], v[124:125]
	v_mul_f64 v[124:125], v[150:151], s[38:39]
	v_add_f64 v[10:11], v[126:127], v[10:11]
	v_mul_f64 v[126:127], v[148:149], s[40:41]
	s_delay_alu instid0(VALU_DEP_4) | instskip(NEXT) | instid1(VALU_DEP_2)
	v_add_f64 v[8:9], v[90:91], v[8:9]
	v_fma_f64 v[140:141], v[136:137], s[12:13], v[126:127]
	v_fma_f64 v[90:91], v[136:137], s[12:13], -v[126:127]
	v_mul_f64 v[126:127], v[148:149], s[38:39]
	s_delay_alu instid0(VALU_DEP_3) | instskip(SKIP_1) | instid1(VALU_DEP_4)
	v_add_f64 v[96:97], v[140:141], v[96:97]
	v_mul_f64 v[140:141], v[166:167], s[38:39]
	v_add_f64 v[88:89], v[90:91], v[88:89]
	s_delay_alu instid0(VALU_DEP_2) | instskip(SKIP_2) | instid1(VALU_DEP_3)
	v_fma_f64 v[142:143], v[158:159], s[30:31], -v[140:141]
	v_fma_f64 v[90:91], v[158:159], s[30:31], v[140:141]
	v_mul_f64 v[140:141], v[166:167], s[48:49]
	v_add_f64 v[10:11], v[142:143], v[10:11]
	v_mul_f64 v[142:143], v[164:165], s[38:39]
	s_delay_alu instid0(VALU_DEP_4) | instskip(NEXT) | instid1(VALU_DEP_2)
	v_add_f64 v[8:9], v[90:91], v[8:9]
	v_fma_f64 v[144:145], v[156:157], s[30:31], v[142:143]
	v_fma_f64 v[90:91], v[156:157], s[30:31], -v[142:143]
	v_mul_f64 v[142:143], v[164:165], s[48:49]
	s_delay_alu instid0(VALU_DEP_3) | instskip(SKIP_1) | instid1(VALU_DEP_4)
	v_add_f64 v[96:97], v[144:145], v[96:97]
	v_mul_f64 v[144:145], v[178:179], s[44:45]
	v_add_f64 v[88:89], v[90:91], v[88:89]
	s_delay_alu instid0(VALU_DEP_2) | instskip(SKIP_2) | instid1(VALU_DEP_3)
	v_fma_f64 v[146:147], v[174:175], s[14:15], -v[144:145]
	v_fma_f64 v[90:91], v[174:175], s[14:15], v[144:145]
	v_mul_f64 v[144:145], v[178:179], s[22:23]
	v_add_f64 v[248:249], v[146:147], v[10:11]
	v_mul_f64 v[10:11], v[176:177], s[44:45]
	s_delay_alu instid0(VALU_DEP_4) | instskip(SKIP_1) | instid1(VALU_DEP_3)
	v_add_f64 v[116:117], v[90:91], v[8:9]
	v_mul_f64 v[8:9], v[72:73], s[44:45]
	v_fma_f64 v[146:147], v[172:173], s[14:15], v[10:11]
	v_fma_f64 v[10:11], v[172:173], s[14:15], -v[10:11]
	s_delay_alu instid0(VALU_DEP_2) | instskip(NEXT) | instid1(VALU_DEP_2)
	v_add_f64 v[250:251], v[146:147], v[96:97]
	v_add_f64 v[118:119], v[10:11], v[88:89]
	v_fma_f64 v[10:11], v[68:69], s[14:15], -v[8:9]
	v_fma_f64 v[8:9], v[68:69], s[14:15], v[8:9]
	s_delay_alu instid0(VALU_DEP_2) | instskip(SKIP_1) | instid1(VALU_DEP_3)
	v_add_f64 v[10:11], v[10:11], v[82:83]
	v_mul_f64 v[82:83], v[70:71], s[44:45]
	v_add_f64 v[8:9], v[8:9], v[76:77]
	v_mul_f64 v[70:71], v[70:71], s[46:47]
	s_delay_alu instid0(VALU_DEP_3) | instskip(SKIP_2) | instid1(VALU_DEP_3)
	v_fma_f64 v[88:89], v[22:23], s[14:15], v[82:83]
	v_fma_f64 v[76:77], v[22:23], s[14:15], -v[82:83]
	v_mul_f64 v[82:83], v[134:135], s[28:29]
	v_add_f64 v[80:81], v[88:89], v[80:81]
	v_mul_f64 v[88:89], v[86:87], s[36:37]
	s_delay_alu instid0(VALU_DEP_4) | instskip(NEXT) | instid1(VALU_DEP_2)
	v_add_f64 v[74:75], v[76:77], v[74:75]
	v_fma_f64 v[90:91], v[78:79], s[16:17], -v[88:89]
	v_fma_f64 v[76:77], v[78:79], s[16:17], v[88:89]
	v_mul_f64 v[88:89], v[148:149], s[44:45]
	s_delay_alu instid0(VALU_DEP_3) | instskip(SKIP_1) | instid1(VALU_DEP_4)
	v_add_f64 v[10:11], v[90:91], v[10:11]
	v_mul_f64 v[90:91], v[84:85], s[36:37]
	v_add_f64 v[8:9], v[76:77], v[8:9]
	s_delay_alu instid0(VALU_DEP_2) | instskip(SKIP_2) | instid1(VALU_DEP_3)
	v_fma_f64 v[96:97], v[20:21], s[16:17], v[90:91]
	v_fma_f64 v[76:77], v[20:21], s[16:17], -v[90:91]
	v_mul_f64 v[90:91], v[166:167], s[22:23]
	v_add_f64 v[80:81], v[96:97], v[80:81]
	v_mul_f64 v[96:97], v[102:103], s[56:57]
	s_delay_alu instid0(VALU_DEP_4) | instskip(NEXT) | instid1(VALU_DEP_2)
	v_add_f64 v[74:75], v[76:77], v[74:75]
	v_fma_f64 v[98:99], v[94:95], s[20:21], -v[96:97]
	v_fma_f64 v[76:77], v[94:95], s[20:21], v[96:97]
	v_mul_f64 v[96:97], v[164:165], s[22:23]
	s_delay_alu instid0(VALU_DEP_3) | instskip(SKIP_1) | instid1(VALU_DEP_4)
	v_add_f64 v[10:11], v[98:99], v[10:11]
	v_mul_f64 v[98:99], v[100:101], s[56:57]
	v_add_f64 v[8:9], v[76:77], v[8:9]
	s_delay_alu instid0(VALU_DEP_2) | instskip(SKIP_2) | instid1(VALU_DEP_3)
	v_fma_f64 v[104:105], v[92:93], s[20:21], v[98:99]
	v_fma_f64 v[76:77], v[92:93], s[20:21], -v[98:99]
	v_mul_f64 v[98:99], v[178:179], s[52:53]
	v_add_f64 v[80:81], v[104:105], v[80:81]
	v_mul_f64 v[104:105], v[134:135], s[24:25]
	s_delay_alu instid0(VALU_DEP_4) | instskip(NEXT) | instid1(VALU_DEP_2)
	v_add_f64 v[74:75], v[76:77], v[74:75]
	v_fma_f64 v[106:107], v[130:131], s[0:1], -v[104:105]
	v_fma_f64 v[76:77], v[130:131], s[0:1], v[104:105]
	s_delay_alu instid0(VALU_DEP_2) | instskip(SKIP_1) | instid1(VALU_DEP_3)
	v_add_f64 v[10:11], v[106:107], v[10:11]
	v_mul_f64 v[106:107], v[132:133], s[24:25]
	v_add_f64 v[8:9], v[76:77], v[8:9]
	s_delay_alu instid0(VALU_DEP_2) | instskip(SKIP_1) | instid1(VALU_DEP_2)
	v_fma_f64 v[120:121], v[128:129], s[0:1], v[106:107]
	v_fma_f64 v[76:77], v[128:129], s[0:1], -v[106:107]
	v_add_f64 v[80:81], v[120:121], v[80:81]
	v_fma_f64 v[120:121], v[138:139], s[30:31], -v[124:125]
	s_delay_alu instid0(VALU_DEP_3) | instskip(SKIP_1) | instid1(VALU_DEP_3)
	v_add_f64 v[74:75], v[76:77], v[74:75]
	v_fma_f64 v[76:77], v[138:139], s[30:31], v[124:125]
	v_add_f64 v[10:11], v[120:121], v[10:11]
	v_fma_f64 v[120:121], v[136:137], s[30:31], v[126:127]
	s_delay_alu instid0(VALU_DEP_3) | instskip(SKIP_1) | instid1(VALU_DEP_3)
	v_add_f64 v[8:9], v[76:77], v[8:9]
	v_fma_f64 v[76:77], v[136:137], s[30:31], -v[126:127]
	v_add_f64 v[80:81], v[120:121], v[80:81]
	v_fma_f64 v[120:121], v[158:159], s[12:13], -v[140:141]
	s_delay_alu instid0(VALU_DEP_3) | instskip(SKIP_1) | instid1(VALU_DEP_3)
	v_add_f64 v[74:75], v[76:77], v[74:75]
	v_fma_f64 v[76:77], v[158:159], s[12:13], v[140:141]
	v_add_f64 v[10:11], v[120:121], v[10:11]
	v_fma_f64 v[120:121], v[156:157], s[12:13], v[142:143]
	s_delay_alu instid0(VALU_DEP_3) | instskip(SKIP_1) | instid1(VALU_DEP_3)
	v_add_f64 v[8:9], v[76:77], v[8:9]
	v_fma_f64 v[76:77], v[156:157], s[12:13], -v[142:143]
	v_add_f64 v[80:81], v[120:121], v[80:81]
	v_fma_f64 v[120:121], v[174:175], s[18:19], -v[144:145]
	s_delay_alu instid0(VALU_DEP_3) | instskip(SKIP_1) | instid1(VALU_DEP_3)
	v_add_f64 v[74:75], v[76:77], v[74:75]
	v_fma_f64 v[76:77], v[174:175], s[18:19], v[144:145]
	v_add_f64 v[120:121], v[120:121], v[10:11]
	v_mul_f64 v[10:11], v[176:177], s[22:23]
	s_delay_alu instid0(VALU_DEP_3)
	v_add_f64 v[124:125], v[76:77], v[8:9]
	v_mul_f64 v[8:9], v[72:73], s[46:47]
	v_mul_f64 v[72:73], v[86:87], s[34:35]
	;; [unrolled: 1-line block ×4, first 2 shown]
	v_add_f64 v[102:103], v[226:227], -v[28:29]
	v_fma_f64 v[122:123], v[172:173], s[18:19], v[10:11]
	v_fma_f64 v[10:11], v[172:173], s[18:19], -v[10:11]
	s_delay_alu instid0(VALU_DEP_2) | instskip(NEXT) | instid1(VALU_DEP_2)
	v_add_f64 v[122:123], v[122:123], v[80:81]
	v_add_f64 v[126:127], v[10:11], v[74:75]
	v_fma_f64 v[10:11], v[68:69], s[0:1], -v[8:9]
	v_mul_f64 v[74:75], v[84:85], s[34:35]
	v_mul_f64 v[80:81], v[100:101], s[48:49]
	;; [unrolled: 1-line block ×4, first 2 shown]
	v_fma_f64 v[8:9], v[68:69], s[0:1], v[8:9]
	v_add_f64 v[10:11], v[10:11], v[14:15]
	v_fma_f64 v[14:15], v[22:23], s[0:1], v[70:71]
	s_delay_alu instid0(VALU_DEP_3) | instskip(SKIP_1) | instid1(VALU_DEP_3)
	v_add_f64 v[8:9], v[8:9], v[16:17]
	v_fma_f64 v[16:17], v[78:79], s[26:27], v[72:73]
	v_add_f64 v[12:13], v[14:15], v[12:13]
	v_fma_f64 v[14:15], v[78:79], s[26:27], -v[72:73]
	s_waitcnt vmcnt(5)
	v_add_f64 v[72:73], v[209:210], v[36:37]
	s_delay_alu instid0(VALU_DEP_4) | instskip(SKIP_1) | instid1(VALU_DEP_4)
	v_add_f64 v[8:9], v[16:17], v[8:9]
	v_fma_f64 v[16:17], v[94:95], s[12:13], v[76:77]
	v_add_f64 v[10:11], v[14:15], v[10:11]
	v_fma_f64 v[14:15], v[20:21], s[26:27], v[74:75]
	s_delay_alu instid0(VALU_DEP_3) | instskip(SKIP_1) | instid1(VALU_DEP_3)
	v_add_f64 v[8:9], v[16:17], v[8:9]
	v_fma_f64 v[16:17], v[130:131], s[20:21], v[82:83]
	v_add_f64 v[12:13], v[14:15], v[12:13]
	v_fma_f64 v[14:15], v[94:95], s[12:13], -v[76:77]
	v_add_f64 v[76:77], v[209:210], -v[36:37]
	scratch_load_b64 v[36:37], off, off offset:384 ; 8-byte Folded Reload
	s_waitcnt vmcnt(2)
	v_add_f64 v[68:69], v[206:207], v[30:31]
	v_add_f64 v[8:9], v[16:17], v[8:9]
	v_fma_f64 v[16:17], v[138:139], s[14:15], v[86:87]
	v_add_f64 v[78:79], v[206:207], -v[30:31]
	scratch_load_b64 v[30:31], off, off offset:368 ; 8-byte Folded Reload
	v_add_f64 v[10:11], v[14:15], v[10:11]
	v_fma_f64 v[14:15], v[92:93], s[12:13], v[80:81]
	v_mul_f64 v[104:105], v[76:77], s[40:41]
	v_add_f64 v[8:9], v[16:17], v[8:9]
	v_fma_f64 v[16:17], v[158:159], s[18:19], v[90:91]
	v_mul_f64 v[150:151], v[78:79], s[40:41]
	v_add_f64 v[12:13], v[14:15], v[12:13]
	v_fma_f64 v[14:15], v[130:131], s[20:21], -v[82:83]
	s_delay_alu instid0(VALU_DEP_4) | instskip(SKIP_1) | instid1(VALU_DEP_3)
	v_add_f64 v[8:9], v[16:17], v[8:9]
	v_fma_f64 v[16:17], v[174:175], s[16:17], v[98:99]
	v_add_f64 v[10:11], v[14:15], v[10:11]
	v_fma_f64 v[14:15], v[128:129], s[20:21], v[84:85]
	s_delay_alu instid0(VALU_DEP_3) | instskip(NEXT) | instid1(VALU_DEP_2)
	v_add_f64 v[16:17], v[16:17], v[8:9]
	v_add_f64 v[12:13], v[14:15], v[12:13]
	v_fma_f64 v[14:15], v[138:139], s[14:15], -v[86:87]
	s_delay_alu instid0(VALU_DEP_1) | instskip(SKIP_1) | instid1(VALU_DEP_1)
	v_add_f64 v[10:11], v[14:15], v[10:11]
	v_fma_f64 v[14:15], v[136:137], s[14:15], v[88:89]
	v_add_f64 v[12:13], v[14:15], v[12:13]
	v_fma_f64 v[14:15], v[158:159], s[18:19], -v[90:91]
	s_delay_alu instid0(VALU_DEP_1) | instskip(SKIP_1) | instid1(VALU_DEP_1)
	v_add_f64 v[10:11], v[14:15], v[10:11]
	v_fma_f64 v[14:15], v[156:157], s[18:19], v[96:97]
	v_add_f64 v[14:15], v[14:15], v[12:13]
	v_fma_f64 v[12:13], v[174:175], s[16:17], -v[98:99]
	v_mul_f64 v[174:175], v[102:103], s[22:23]
	s_waitcnt vmcnt(0)
	v_add_f64 v[86:87], v[211:212], -v[30:31]
	s_delay_alu instid0(VALU_DEP_3) | instskip(SKIP_1) | instid1(VALU_DEP_3)
	v_add_f64 v[12:13], v[12:13], v[10:11]
	v_fma_f64 v[10:11], v[172:173], s[16:17], v[100:101]
	v_mul_f64 v[158:159], v[86:87], s[42:43]
	s_delay_alu instid0(VALU_DEP_2) | instskip(SKIP_2) | instid1(VALU_DEP_2)
	v_add_f64 v[14:15], v[10:11], v[14:15]
	v_fma_f64 v[10:11], v[22:23], s[0:1], -v[70:71]
	v_add_f64 v[22:23], v[219:220], -v[40:41]
	v_add_f64 v[10:11], v[10:11], v[18:19]
	v_fma_f64 v[18:19], v[20:21], s[26:27], -v[74:75]
	v_add_f64 v[20:21], v[204:205], v[38:39]
	s_delay_alu instid0(VALU_DEP_4) | instskip(NEXT) | instid1(VALU_DEP_3)
	v_mul_f64 v[144:145], v[22:23], s[24:25]
	v_add_f64 v[10:11], v[18:19], v[10:11]
	v_fma_f64 v[18:19], v[92:93], s[12:13], -v[80:81]
	s_delay_alu instid0(VALU_DEP_3) | instskip(SKIP_2) | instid1(VALU_DEP_4)
	v_fma_f64 v[8:9], v[20:21], s[0:1], -v[144:145]
	v_fma_f64 v[80:81], v[72:73], s[12:13], v[150:151]
	v_fma_f64 v[144:145], v[20:21], s[0:1], v[144:145]
	v_add_f64 v[10:11], v[18:19], v[10:11]
	v_fma_f64 v[18:19], v[128:129], s[20:21], -v[84:85]
	v_add_f64 v[8:9], v[228:229], v[8:9]
	v_add_f64 v[84:85], v[213:214], -v[36:37]
	v_add_f64 v[144:145], v[228:229], v[144:145]
	s_delay_alu instid0(VALU_DEP_4) | instskip(SKIP_1) | instid1(VALU_DEP_1)
	v_add_f64 v[10:11], v[18:19], v[10:11]
	v_fma_f64 v[18:19], v[136:137], s[14:15], -v[88:89]
	v_add_f64 v[10:11], v[18:19], v[10:11]
	v_fma_f64 v[18:19], v[156:157], s[18:19], -v[96:97]
	v_mul_f64 v[156:157], v[84:85], s[42:43]
	s_delay_alu instid0(VALU_DEP_2) | instskip(SKIP_1) | instid1(VALU_DEP_1)
	v_add_f64 v[10:11], v[18:19], v[10:11]
	v_fma_f64 v[18:19], v[172:173], s[16:17], -v[100:101]
	v_add_f64 v[18:19], v[18:19], v[10:11]
	v_fma_f64 v[10:11], v[68:69], s[12:13], -v[104:105]
	v_fma_f64 v[104:105], v[68:69], s[12:13], v[104:105]
	s_delay_alu instid0(VALU_DEP_2) | instskip(SKIP_1) | instid1(VALU_DEP_3)
	v_add_f64 v[8:9], v[10:11], v[8:9]
	v_dual_mov_b32 v10, v38 :: v_dual_mov_b32 v11, v39
	v_add_f64 v[104:105], v[104:105], v[144:145]
	v_fma_f64 v[144:145], v[72:73], s[12:13], -v[150:151]
	s_delay_alu instid0(VALU_DEP_3) | instskip(SKIP_2) | instid1(VALU_DEP_2)
	v_add_f64 v[74:75], v[204:205], -v[10:11]
	v_dual_mov_b32 v10, v40 :: v_dual_mov_b32 v11, v41
	v_mov_b32_e32 v41, v25
	v_add_f64 v[70:71], v[219:220], v[10:11]
	s_delay_alu instid0(VALU_DEP_4) | instskip(NEXT) | instid1(VALU_DEP_1)
	v_mul_f64 v[106:107], v[74:75], s[24:25]
	v_fma_f64 v[10:11], v[70:71], s[0:1], v[106:107]
	v_fma_f64 v[106:107], v[70:71], s[0:1], -v[106:107]
	s_delay_alu instid0(VALU_DEP_2) | instskip(NEXT) | instid1(VALU_DEP_2)
	v_add_f64 v[10:11], v[230:231], v[10:11]
	v_add_f64 v[106:107], v[230:231], v[106:107]
	s_delay_alu instid0(VALU_DEP_2)
	v_add_f64 v[10:11], v[80:81], v[10:11]
	v_add_f64 v[80:81], v[211:212], v[30:31]
	scratch_load_b64 v[30:31], off, off offset:336 ; 8-byte Folded Reload
	v_mov_b32_e32 v211, v226
	v_add_f64 v[106:107], v[144:145], v[106:107]
	v_fma_f64 v[82:83], v[80:81], s[14:15], -v[156:157]
	v_fma_f64 v[144:145], v[80:81], s[14:15], v[156:157]
	s_delay_alu instid0(VALU_DEP_2)
	v_add_f64 v[8:9], v[82:83], v[8:9]
	v_add_f64 v[82:83], v[213:214], v[36:37]
	scratch_load_b64 v[36:37], off, off offset:352 ; 8-byte Folded Reload
	v_add_f64 v[104:105], v[144:145], v[104:105]
	v_fma_f64 v[88:89], v[82:83], s[14:15], v[158:159]
	v_fma_f64 v[144:145], v[82:83], s[14:15], -v[158:159]
	v_mul_f64 v[158:159], v[78:79], s[36:37]
	s_delay_alu instid0(VALU_DEP_3) | instskip(NEXT) | instid1(VALU_DEP_3)
	v_add_f64 v[10:11], v[88:89], v[10:11]
	v_add_f64 v[106:107], v[144:145], v[106:107]
	s_waitcnt vmcnt(1)
	v_add_f64 v[88:89], v[217:218], v[30:31]
	v_add_f64 v[94:95], v[217:218], -v[30:31]
	s_delay_alu instid0(VALU_DEP_1) | instskip(SKIP_2) | instid1(VALU_DEP_1)
	v_mul_f64 v[166:167], v[94:95], s[36:37]
	s_waitcnt vmcnt(0)
	v_add_f64 v[92:93], v[215:216], -v[36:37]
	v_mul_f64 v[164:165], v[92:93], s[36:37]
	s_delay_alu instid0(VALU_DEP_1) | instskip(SKIP_2) | instid1(VALU_DEP_3)
	v_fma_f64 v[90:91], v[88:89], s[16:17], -v[164:165]
	v_fma_f64 v[144:145], v[88:89], s[16:17], v[164:165]
	v_fma_f64 v[164:165], v[72:73], s[16:17], v[158:159]
	v_add_f64 v[8:9], v[90:91], v[8:9]
	v_add_f64 v[90:91], v[215:216], v[36:37]
	s_clause 0x2
	scratch_load_b64 v[215:216], off, off offset:1912
	scratch_load_b64 v[30:31], off, off offset:1280
	;; [unrolled: 1-line block ×3, first 2 shown]
	v_add_f64 v[104:105], v[144:145], v[104:105]
	v_fma_f64 v[96:97], v[90:91], s[16:17], v[166:167]
	v_fma_f64 v[144:145], v[90:91], s[16:17], -v[166:167]
	s_delay_alu instid0(VALU_DEP_2) | instskip(SKIP_1) | instid1(VALU_DEP_3)
	v_add_f64 v[10:11], v[96:97], v[10:11]
	v_add_f64 v[96:97], v[226:227], v[28:29]
	;; [unrolled: 1-line block ×3, first 2 shown]
	s_waitcnt vmcnt(1)
	v_mov_b32_e32 v220, v31
	s_waitcnt vmcnt(0)
	v_add_f64 v[100:101], v[30:31], -v[36:37]
	v_mov_b32_e32 v219, v30
	v_mov_b32_e32 v43, v37
	v_add_f64 v[134:135], v[215:216], -v[24:25]
	s_delay_alu instid0(VALU_DEP_4) | instskip(NEXT) | instid1(VALU_DEP_2)
	v_mul_f64 v[172:173], v[100:101], s[22:23]
	v_mul_f64 v[178:179], v[134:135], s[28:29]
	s_delay_alu instid0(VALU_DEP_2) | instskip(SKIP_1) | instid1(VALU_DEP_2)
	v_fma_f64 v[98:99], v[96:97], s[18:19], -v[172:173]
	v_fma_f64 v[144:145], v[96:97], s[18:19], v[172:173]
	v_add_f64 v[8:9], v[98:99], v[8:9]
	v_add_f64 v[98:99], v[30:31], v[36:37]
	s_clause 0x1
	scratch_load_b64 v[28:29], off, off offset:1248
	scratch_load_b64 v[30:31], off, off offset:1264
	v_add_f64 v[104:105], v[144:145], v[104:105]
	v_fma_f64 v[128:129], v[98:99], s[18:19], v[174:175]
	v_fma_f64 v[144:145], v[98:99], s[18:19], -v[174:175]
	s_delay_alu instid0(VALU_DEP_2) | instskip(SKIP_1) | instid1(VALU_DEP_3)
	v_add_f64 v[10:11], v[128:129], v[10:11]
	v_add_f64 v[128:129], v[215:216], v[24:25]
	v_add_f64 v[106:107], v[144:145], v[106:107]
	s_waitcnt vmcnt(0)
	v_add_f64 v[132:133], v[28:29], -v[30:31]
	v_dual_mov_b32 v39, v31 :: v_dual_mov_b32 v38, v30
	s_delay_alu instid0(VALU_DEP_2) | instskip(NEXT) | instid1(VALU_DEP_1)
	v_mul_f64 v[176:177], v[132:133], s[28:29]
	v_fma_f64 v[130:131], v[128:129], s[20:21], -v[176:177]
	v_fma_f64 v[144:145], v[128:129], s[20:21], v[176:177]
	s_delay_alu instid0(VALU_DEP_2)
	v_add_f64 v[8:9], v[130:131], v[8:9]
	v_add_f64 v[130:131], v[28:29], v[30:31]
	s_clause 0x1
	scratch_load_b64 v[30:31], off, off offset:1200
	scratch_load_b64 v[146:147], off, off offset:1232
	v_mov_b32_e32 v42, v36
	v_mov_b32_e32 v40, v24
	s_clause 0x1
	scratch_load_b64 v[24:25], off, off offset:1184
	scratch_load_b64 v[36:37], off, off offset:1216
	v_dual_mov_b32 v212, v227 :: v_dual_mov_b32 v227, v29
	v_mov_b32_e32 v226, v28
	v_add_f64 v[104:105], v[144:145], v[104:105]
	v_fma_f64 v[136:137], v[130:131], s[20:21], v[178:179]
	v_fma_f64 v[144:145], v[130:131], s[20:21], -v[178:179]
	s_delay_alu instid0(VALU_DEP_2) | instskip(NEXT) | instid1(VALU_DEP_2)
	v_add_f64 v[10:11], v[136:137], v[10:11]
	v_add_f64 v[106:107], v[144:145], v[106:107]
	s_waitcnt vmcnt(3)
	v_mov_b32_e32 v218, v31
	s_waitcnt vmcnt(2)
	v_add_f64 v[140:141], v[30:31], -v[146:147]
	s_waitcnt vmcnt(1)
	v_dual_mov_b32 v217, v30 :: v_dual_mov_b32 v214, v25
	s_waitcnt vmcnt(0)
	v_add_f64 v[136:137], v[24:25], v[36:37]
	v_mov_b32_e32 v213, v24
	v_add_f64 v[142:143], v[24:25], -v[36:37]
	v_dual_mov_b32 v28, v36 :: v_dual_mov_b32 v29, v37
	v_dual_mov_b32 v36, v146 :: v_dual_mov_b32 v37, v147
	v_mul_f64 v[184:185], v[140:141], s[34:35]
	s_delay_alu instid0(VALU_DEP_4) | instskip(NEXT) | instid1(VALU_DEP_2)
	v_mul_f64 v[186:187], v[142:143], s[34:35]
	v_fma_f64 v[138:139], v[136:137], s[26:27], -v[184:185]
	v_fma_f64 v[144:145], v[136:137], s[26:27], v[184:185]
	s_delay_alu instid0(VALU_DEP_2)
	v_add_f64 v[148:149], v[138:139], v[8:9]
	v_add_f64 v[138:139], v[30:31], v[146:147]
	s_clause 0x1
	scratch_load_b64 v[24:25], off, off offset:1152
	scratch_load_b64 v[30:31], off, off offset:1168
	v_add_f64 v[104:105], v[144:145], v[104:105]
	v_fma_f64 v[8:9], v[138:139], s[26:27], v[186:187]
	v_fma_f64 v[144:145], v[138:139], s[26:27], -v[186:187]
	s_delay_alu instid0(VALU_DEP_2) | instskip(SKIP_1) | instid1(VALU_DEP_3)
	v_add_f64 v[188:189], v[8:9], v[10:11]
	v_add_f64 v[8:9], v[196:197], -v[26:27]
	v_add_f64 v[106:107], v[144:145], v[106:107]
	s_delay_alu instid0(VALU_DEP_2)
	v_mul_f64 v[190:191], v[8:9], s[38:39]
	s_waitcnt vmcnt(1)
	v_mov_b32_e32 v193, v25
	s_waitcnt vmcnt(0)
	v_add_f64 v[146:147], v[24:25], v[30:31]
	v_dual_mov_b32 v192, v24 :: v_dual_mov_b32 v195, v31
	v_mov_b32_e32 v194, v30
	s_delay_alu instid0(VALU_DEP_3) | instskip(SKIP_1) | instid1(VALU_DEP_2)
	v_fma_f64 v[10:11], v[146:147], s[30:31], -v[190:191]
	v_fma_f64 v[144:145], v[146:147], s[30:31], v[190:191]
	v_add_f64 v[200:201], v[10:11], v[148:149]
	v_add_f64 v[10:11], v[24:25], -v[30:31]
	v_dual_mov_b32 v31, v27 :: v_dual_mov_b32 v24, v196
	v_mov_b32_e32 v25, v197
	v_add_f64 v[148:149], v[196:197], v[26:27]
	v_add_f64 v[104:105], v[144:145], v[104:105]
	v_mul_f64 v[144:145], v[76:77], s[36:37]
	v_mov_b32_e32 v30, v26
	v_mul_f64 v[196:197], v[10:11], s[38:39]
	s_delay_alu instid0(VALU_DEP_1) | instskip(SKIP_1) | instid1(VALU_DEP_2)
	v_fma_f64 v[198:199], v[148:149], s[30:31], v[196:197]
	v_fma_f64 v[150:151], v[148:149], s[30:31], -v[196:197]
	v_add_f64 v[202:203], v[198:199], v[188:189]
	s_delay_alu instid0(VALU_DEP_2)
	v_add_f64 v[106:107], v[150:151], v[106:107]
	v_fma_f64 v[150:151], v[68:69], s[16:17], -v[144:145]
	v_fma_f64 v[144:145], v[68:69], s[16:17], v[144:145]
	s_clause 0x1
	scratch_store_b128 off, v[200:203], off offset:64
	scratch_store_b128 off, v[104:107], off offset:96
	v_mul_f64 v[104:105], v[22:23], s[40:41]
	s_delay_alu instid0(VALU_DEP_1) | instskip(SKIP_1) | instid1(VALU_DEP_2)
	v_fma_f64 v[106:107], v[20:21], s[12:13], -v[104:105]
	v_fma_f64 v[104:105], v[20:21], s[12:13], v[104:105]
	v_add_f64 v[106:107], v[228:229], v[106:107]
	s_delay_alu instid0(VALU_DEP_2) | instskip(NEXT) | instid1(VALU_DEP_2)
	v_add_f64 v[104:105], v[228:229], v[104:105]
	v_add_f64 v[106:107], v[150:151], v[106:107]
	v_mul_f64 v[150:151], v[74:75], s[40:41]
	s_delay_alu instid0(VALU_DEP_3) | instskip(NEXT) | instid1(VALU_DEP_2)
	v_add_f64 v[104:105], v[144:145], v[104:105]
	v_fma_f64 v[156:157], v[70:71], s[12:13], v[150:151]
	v_fma_f64 v[144:145], v[70:71], s[12:13], -v[150:151]
	v_fma_f64 v[150:151], v[72:73], s[16:17], -v[158:159]
	v_mul_f64 v[158:159], v[78:79], s[28:29]
	s_delay_alu instid0(VALU_DEP_4) | instskip(NEXT) | instid1(VALU_DEP_4)
	v_add_f64 v[156:157], v[230:231], v[156:157]
	v_add_f64 v[144:145], v[230:231], v[144:145]
	s_delay_alu instid0(VALU_DEP_2) | instskip(SKIP_1) | instid1(VALU_DEP_3)
	v_add_f64 v[156:157], v[164:165], v[156:157]
	v_mul_f64 v[164:165], v[84:85], s[28:29]
	v_add_f64 v[144:145], v[150:151], v[144:145]
	s_delay_alu instid0(VALU_DEP_2) | instskip(SKIP_2) | instid1(VALU_DEP_3)
	v_fma_f64 v[166:167], v[80:81], s[20:21], -v[164:165]
	v_fma_f64 v[150:151], v[80:81], s[20:21], v[164:165]
	v_fma_f64 v[164:165], v[72:73], s[20:21], v[158:159]
	v_add_f64 v[106:107], v[166:167], v[106:107]
	v_mul_f64 v[166:167], v[86:87], s[28:29]
	s_delay_alu instid0(VALU_DEP_4) | instskip(NEXT) | instid1(VALU_DEP_2)
	v_add_f64 v[104:105], v[150:151], v[104:105]
	v_fma_f64 v[172:173], v[82:83], s[20:21], v[166:167]
	v_fma_f64 v[150:151], v[82:83], s[20:21], -v[166:167]
	s_delay_alu instid0(VALU_DEP_2) | instskip(SKIP_1) | instid1(VALU_DEP_3)
	v_add_f64 v[156:157], v[172:173], v[156:157]
	v_mul_f64 v[172:173], v[92:93], s[38:39]
	v_add_f64 v[144:145], v[150:151], v[144:145]
	s_delay_alu instid0(VALU_DEP_2) | instskip(SKIP_1) | instid1(VALU_DEP_2)
	v_fma_f64 v[174:175], v[88:89], s[30:31], -v[172:173]
	v_fma_f64 v[150:151], v[88:89], s[30:31], v[172:173]
	v_add_f64 v[106:107], v[174:175], v[106:107]
	v_mul_f64 v[174:175], v[94:95], s[38:39]
	s_delay_alu instid0(VALU_DEP_3) | instskip(NEXT) | instid1(VALU_DEP_2)
	v_add_f64 v[104:105], v[150:151], v[104:105]
	v_fma_f64 v[176:177], v[90:91], s[30:31], v[174:175]
	v_fma_f64 v[150:151], v[90:91], s[30:31], -v[174:175]
	s_delay_alu instid0(VALU_DEP_2) | instskip(SKIP_1) | instid1(VALU_DEP_3)
	v_add_f64 v[156:157], v[176:177], v[156:157]
	v_mul_f64 v[176:177], v[100:101], s[54:55]
	v_add_f64 v[144:145], v[150:151], v[144:145]
	s_delay_alu instid0(VALU_DEP_2) | instskip(SKIP_1) | instid1(VALU_DEP_2)
	v_fma_f64 v[178:179], v[96:97], s[26:27], -v[176:177]
	v_fma_f64 v[150:151], v[96:97], s[26:27], v[176:177]
	v_add_f64 v[106:107], v[178:179], v[106:107]
	v_mul_f64 v[178:179], v[102:103], s[54:55]
	s_delay_alu instid0(VALU_DEP_3) | instskip(NEXT) | instid1(VALU_DEP_2)
	;; [unrolled: 13-line block ×5, first 2 shown]
	v_add_f64 v[104:105], v[150:151], v[104:105]
	v_fma_f64 v[198:199], v[148:149], s[0:1], v[106:107]
	v_fma_f64 v[106:107], v[148:149], s[0:1], -v[106:107]
	s_delay_alu instid0(VALU_DEP_2) | instskip(NEXT) | instid1(VALU_DEP_2)
	v_add_f64 v[202:203], v[198:199], v[156:157]
	v_add_f64 v[106:107], v[106:107], v[144:145]
	v_mul_f64 v[144:145], v[76:77], s[28:29]
	s_clause 0x1
	scratch_store_b128 off, v[200:203], off offset:16
	scratch_store_b128 off, v[104:107], off offset:32
	v_mul_f64 v[104:105], v[22:23], s[42:43]
	v_fma_f64 v[150:151], v[68:69], s[20:21], -v[144:145]
	v_fma_f64 v[144:145], v[68:69], s[20:21], v[144:145]
	s_delay_alu instid0(VALU_DEP_3) | instskip(SKIP_1) | instid1(VALU_DEP_2)
	v_fma_f64 v[106:107], v[20:21], s[14:15], -v[104:105]
	v_fma_f64 v[104:105], v[20:21], s[14:15], v[104:105]
	v_add_f64 v[106:107], v[228:229], v[106:107]
	s_delay_alu instid0(VALU_DEP_2) | instskip(NEXT) | instid1(VALU_DEP_2)
	v_add_f64 v[104:105], v[228:229], v[104:105]
	v_add_f64 v[106:107], v[150:151], v[106:107]
	v_mul_f64 v[150:151], v[74:75], s[42:43]
	s_delay_alu instid0(VALU_DEP_3) | instskip(NEXT) | instid1(VALU_DEP_2)
	v_add_f64 v[104:105], v[144:145], v[104:105]
	v_fma_f64 v[156:157], v[70:71], s[14:15], v[150:151]
	v_fma_f64 v[144:145], v[70:71], s[14:15], -v[150:151]
	v_fma_f64 v[150:151], v[72:73], s[20:21], -v[158:159]
	v_mul_f64 v[158:159], v[78:79], s[38:39]
	s_delay_alu instid0(VALU_DEP_4) | instskip(NEXT) | instid1(VALU_DEP_4)
	v_add_f64 v[156:157], v[230:231], v[156:157]
	v_add_f64 v[144:145], v[230:231], v[144:145]
	s_delay_alu instid0(VALU_DEP_2) | instskip(SKIP_1) | instid1(VALU_DEP_3)
	v_add_f64 v[156:157], v[164:165], v[156:157]
	v_mul_f64 v[164:165], v[84:85], s[58:59]
	v_add_f64 v[144:145], v[150:151], v[144:145]
	s_delay_alu instid0(VALU_DEP_2) | instskip(SKIP_2) | instid1(VALU_DEP_3)
	v_fma_f64 v[166:167], v[80:81], s[30:31], -v[164:165]
	v_fma_f64 v[150:151], v[80:81], s[30:31], v[164:165]
	v_fma_f64 v[164:165], v[72:73], s[30:31], v[158:159]
	v_add_f64 v[106:107], v[166:167], v[106:107]
	v_mul_f64 v[166:167], v[86:87], s[58:59]
	s_delay_alu instid0(VALU_DEP_4) | instskip(NEXT) | instid1(VALU_DEP_2)
	v_add_f64 v[104:105], v[150:151], v[104:105]
	v_fma_f64 v[172:173], v[82:83], s[30:31], v[166:167]
	v_fma_f64 v[150:151], v[82:83], s[30:31], -v[166:167]
	s_delay_alu instid0(VALU_DEP_2) | instskip(SKIP_1) | instid1(VALU_DEP_3)
	v_add_f64 v[156:157], v[172:173], v[156:157]
	v_mul_f64 v[172:173], v[92:93], s[50:51]
	v_add_f64 v[144:145], v[150:151], v[144:145]
	s_delay_alu instid0(VALU_DEP_2) | instskip(SKIP_1) | instid1(VALU_DEP_2)
	v_fma_f64 v[174:175], v[88:89], s[18:19], -v[172:173]
	v_fma_f64 v[150:151], v[88:89], s[18:19], v[172:173]
	v_add_f64 v[106:107], v[174:175], v[106:107]
	v_mul_f64 v[174:175], v[94:95], s[50:51]
	s_delay_alu instid0(VALU_DEP_3) | instskip(NEXT) | instid1(VALU_DEP_2)
	v_add_f64 v[104:105], v[150:151], v[104:105]
	v_fma_f64 v[176:177], v[90:91], s[18:19], v[174:175]
	v_fma_f64 v[150:151], v[90:91], s[18:19], -v[174:175]
	s_delay_alu instid0(VALU_DEP_2) | instskip(SKIP_1) | instid1(VALU_DEP_3)
	v_add_f64 v[156:157], v[176:177], v[156:157]
	v_mul_f64 v[176:177], v[100:101], s[48:49]
	v_add_f64 v[144:145], v[150:151], v[144:145]
	s_delay_alu instid0(VALU_DEP_2) | instskip(SKIP_1) | instid1(VALU_DEP_2)
	v_fma_f64 v[178:179], v[96:97], s[12:13], -v[176:177]
	v_fma_f64 v[150:151], v[96:97], s[12:13], v[176:177]
	v_add_f64 v[106:107], v[178:179], v[106:107]
	v_mul_f64 v[178:179], v[102:103], s[48:49]
	s_delay_alu instid0(VALU_DEP_3) | instskip(NEXT) | instid1(VALU_DEP_2)
	;; [unrolled: 13-line block ×5, first 2 shown]
	v_add_f64 v[104:105], v[150:151], v[104:105]
	v_fma_f64 v[198:199], v[148:149], s[26:27], v[106:107]
	v_fma_f64 v[106:107], v[148:149], s[26:27], -v[106:107]
	s_delay_alu instid0(VALU_DEP_2) | instskip(NEXT) | instid1(VALU_DEP_2)
	v_add_f64 v[202:203], v[198:199], v[156:157]
	v_add_f64 v[106:107], v[106:107], v[144:145]
	v_mul_f64 v[144:145], v[76:77], s[38:39]
	s_clause 0x1
	scratch_store_b128 off, v[200:203], off offset:80
	scratch_store_b128 off, v[104:107], off offset:48
	v_mul_f64 v[104:105], v[22:23], s[36:37]
	v_fma_f64 v[150:151], v[68:69], s[30:31], -v[144:145]
	v_fma_f64 v[144:145], v[68:69], s[30:31], v[144:145]
	s_delay_alu instid0(VALU_DEP_3) | instskip(SKIP_1) | instid1(VALU_DEP_2)
	v_fma_f64 v[106:107], v[20:21], s[16:17], -v[104:105]
	v_fma_f64 v[104:105], v[20:21], s[16:17], v[104:105]
	v_add_f64 v[106:107], v[228:229], v[106:107]
	s_delay_alu instid0(VALU_DEP_2) | instskip(NEXT) | instid1(VALU_DEP_2)
	v_add_f64 v[104:105], v[228:229], v[104:105]
	v_add_f64 v[106:107], v[150:151], v[106:107]
	v_mul_f64 v[150:151], v[74:75], s[36:37]
	s_delay_alu instid0(VALU_DEP_3) | instskip(NEXT) | instid1(VALU_DEP_2)
	v_add_f64 v[104:105], v[144:145], v[104:105]
	v_fma_f64 v[156:157], v[70:71], s[16:17], v[150:151]
	v_fma_f64 v[144:145], v[70:71], s[16:17], -v[150:151]
	v_fma_f64 v[150:151], v[72:73], s[30:31], -v[158:159]
	v_mul_f64 v[158:159], v[78:79], s[54:55]
	s_delay_alu instid0(VALU_DEP_4) | instskip(NEXT) | instid1(VALU_DEP_4)
	v_add_f64 v[156:157], v[230:231], v[156:157]
	v_add_f64 v[144:145], v[230:231], v[144:145]
	s_delay_alu instid0(VALU_DEP_2) | instskip(SKIP_1) | instid1(VALU_DEP_3)
	v_add_f64 v[156:157], v[164:165], v[156:157]
	v_mul_f64 v[164:165], v[84:85], s[50:51]
	v_add_f64 v[144:145], v[150:151], v[144:145]
	s_delay_alu instid0(VALU_DEP_2) | instskip(SKIP_2) | instid1(VALU_DEP_3)
	v_fma_f64 v[166:167], v[80:81], s[18:19], -v[164:165]
	v_fma_f64 v[150:151], v[80:81], s[18:19], v[164:165]
	v_fma_f64 v[164:165], v[72:73], s[26:27], v[158:159]
	v_add_f64 v[106:107], v[166:167], v[106:107]
	v_mul_f64 v[166:167], v[86:87], s[50:51]
	s_delay_alu instid0(VALU_DEP_4) | instskip(NEXT) | instid1(VALU_DEP_2)
	v_add_f64 v[104:105], v[150:151], v[104:105]
	v_fma_f64 v[172:173], v[82:83], s[18:19], v[166:167]
	v_fma_f64 v[150:151], v[82:83], s[18:19], -v[166:167]
	s_delay_alu instid0(VALU_DEP_2) | instskip(SKIP_1) | instid1(VALU_DEP_3)
	v_add_f64 v[156:157], v[172:173], v[156:157]
	v_mul_f64 v[172:173], v[92:93], s[46:47]
	v_add_f64 v[144:145], v[150:151], v[144:145]
	s_delay_alu instid0(VALU_DEP_2) | instskip(SKIP_1) | instid1(VALU_DEP_2)
	v_fma_f64 v[174:175], v[88:89], s[0:1], -v[172:173]
	v_fma_f64 v[150:151], v[88:89], s[0:1], v[172:173]
	v_add_f64 v[106:107], v[174:175], v[106:107]
	v_mul_f64 v[174:175], v[94:95], s[46:47]
	s_delay_alu instid0(VALU_DEP_3) | instskip(NEXT) | instid1(VALU_DEP_2)
	v_add_f64 v[104:105], v[150:151], v[104:105]
	v_fma_f64 v[176:177], v[90:91], s[0:1], v[174:175]
	v_fma_f64 v[150:151], v[90:91], s[0:1], -v[174:175]
	s_delay_alu instid0(VALU_DEP_2) | instskip(SKIP_1) | instid1(VALU_DEP_3)
	v_add_f64 v[156:157], v[176:177], v[156:157]
	v_mul_f64 v[176:177], v[100:101], s[42:43]
	v_add_f64 v[144:145], v[150:151], v[144:145]
	s_delay_alu instid0(VALU_DEP_2) | instskip(SKIP_1) | instid1(VALU_DEP_2)
	v_fma_f64 v[178:179], v[96:97], s[14:15], -v[176:177]
	v_fma_f64 v[150:151], v[96:97], s[14:15], v[176:177]
	v_add_f64 v[106:107], v[178:179], v[106:107]
	v_mul_f64 v[178:179], v[102:103], s[42:43]
	s_delay_alu instid0(VALU_DEP_3) | instskip(NEXT) | instid1(VALU_DEP_2)
	;; [unrolled: 13-line block ×5, first 2 shown]
	v_add_f64 v[104:105], v[150:151], v[104:105]
	v_fma_f64 v[198:199], v[148:149], s[12:13], v[106:107]
	v_fma_f64 v[106:107], v[148:149], s[12:13], -v[106:107]
	s_delay_alu instid0(VALU_DEP_2) | instskip(NEXT) | instid1(VALU_DEP_2)
	v_add_f64 v[202:203], v[198:199], v[156:157]
	v_add_f64 v[106:107], v[106:107], v[144:145]
	v_mul_f64 v[144:145], v[76:77], s[54:55]
	s_clause 0x1
	scratch_store_b128 off, v[200:203], off offset:112
	scratch_store_b128 off, v[104:107], off offset:144
	v_mul_f64 v[104:105], v[22:23], s[22:23]
	v_fma_f64 v[150:151], v[68:69], s[26:27], -v[144:145]
	v_fma_f64 v[144:145], v[68:69], s[26:27], v[144:145]
	s_delay_alu instid0(VALU_DEP_3) | instskip(SKIP_1) | instid1(VALU_DEP_2)
	v_fma_f64 v[106:107], v[20:21], s[18:19], -v[104:105]
	v_fma_f64 v[104:105], v[20:21], s[18:19], v[104:105]
	v_add_f64 v[106:107], v[228:229], v[106:107]
	s_delay_alu instid0(VALU_DEP_2) | instskip(NEXT) | instid1(VALU_DEP_2)
	v_add_f64 v[104:105], v[228:229], v[104:105]
	v_add_f64 v[106:107], v[150:151], v[106:107]
	v_mul_f64 v[150:151], v[74:75], s[22:23]
	s_delay_alu instid0(VALU_DEP_3) | instskip(NEXT) | instid1(VALU_DEP_2)
	v_add_f64 v[104:105], v[144:145], v[104:105]
	v_fma_f64 v[156:157], v[70:71], s[18:19], v[150:151]
	v_fma_f64 v[144:145], v[70:71], s[18:19], -v[150:151]
	v_fma_f64 v[150:151], v[72:73], s[26:27], -v[158:159]
	v_mul_f64 v[158:159], v[78:79], s[50:51]
	s_delay_alu instid0(VALU_DEP_4) | instskip(NEXT) | instid1(VALU_DEP_4)
	v_add_f64 v[156:157], v[230:231], v[156:157]
	v_add_f64 v[144:145], v[230:231], v[144:145]
	s_delay_alu instid0(VALU_DEP_2) | instskip(SKIP_1) | instid1(VALU_DEP_3)
	v_add_f64 v[156:157], v[164:165], v[156:157]
	v_mul_f64 v[164:165], v[84:85], s[48:49]
	v_add_f64 v[144:145], v[150:151], v[144:145]
	s_delay_alu instid0(VALU_DEP_2) | instskip(SKIP_2) | instid1(VALU_DEP_3)
	v_fma_f64 v[166:167], v[80:81], s[12:13], -v[164:165]
	v_fma_f64 v[150:151], v[80:81], s[12:13], v[164:165]
	v_fma_f64 v[164:165], v[72:73], s[18:19], v[158:159]
	v_add_f64 v[106:107], v[166:167], v[106:107]
	v_mul_f64 v[166:167], v[86:87], s[48:49]
	s_delay_alu instid0(VALU_DEP_4) | instskip(NEXT) | instid1(VALU_DEP_2)
	v_add_f64 v[104:105], v[150:151], v[104:105]
	v_fma_f64 v[172:173], v[82:83], s[12:13], v[166:167]
	v_fma_f64 v[150:151], v[82:83], s[12:13], -v[166:167]
	s_delay_alu instid0(VALU_DEP_2) | instskip(SKIP_1) | instid1(VALU_DEP_3)
	v_add_f64 v[156:157], v[172:173], v[156:157]
	v_mul_f64 v[172:173], v[92:93], s[42:43]
	v_add_f64 v[144:145], v[150:151], v[144:145]
	s_delay_alu instid0(VALU_DEP_2) | instskip(SKIP_1) | instid1(VALU_DEP_2)
	v_fma_f64 v[174:175], v[88:89], s[14:15], -v[172:173]
	v_fma_f64 v[150:151], v[88:89], s[14:15], v[172:173]
	v_add_f64 v[106:107], v[174:175], v[106:107]
	v_mul_f64 v[174:175], v[94:95], s[42:43]
	s_delay_alu instid0(VALU_DEP_3) | instskip(NEXT) | instid1(VALU_DEP_2)
	v_add_f64 v[104:105], v[150:151], v[104:105]
	v_fma_f64 v[176:177], v[90:91], s[14:15], v[174:175]
	v_fma_f64 v[150:151], v[90:91], s[14:15], -v[174:175]
	s_delay_alu instid0(VALU_DEP_2) | instskip(SKIP_1) | instid1(VALU_DEP_3)
	v_add_f64 v[156:157], v[176:177], v[156:157]
	v_mul_f64 v[176:177], v[100:101], s[38:39]
	v_add_f64 v[144:145], v[150:151], v[144:145]
	s_delay_alu instid0(VALU_DEP_2) | instskip(SKIP_1) | instid1(VALU_DEP_2)
	v_fma_f64 v[178:179], v[96:97], s[30:31], -v[176:177]
	v_fma_f64 v[150:151], v[96:97], s[30:31], v[176:177]
	v_add_f64 v[106:107], v[178:179], v[106:107]
	v_mul_f64 v[178:179], v[102:103], s[38:39]
	s_delay_alu instid0(VALU_DEP_3) | instskip(NEXT) | instid1(VALU_DEP_2)
	;; [unrolled: 13-line block ×5, first 2 shown]
	v_add_f64 v[104:105], v[150:151], v[104:105]
	v_fma_f64 v[198:199], v[148:149], s[20:21], v[106:107]
	v_fma_f64 v[106:107], v[148:149], s[20:21], -v[106:107]
	s_delay_alu instid0(VALU_DEP_2) | instskip(NEXT) | instid1(VALU_DEP_2)
	v_add_f64 v[202:203], v[198:199], v[156:157]
	v_add_f64 v[106:107], v[106:107], v[144:145]
	v_mul_f64 v[144:145], v[76:77], s[50:51]
	s_clause 0x1
	scratch_store_b128 off, v[200:203], off offset:128
	scratch_store_b128 off, v[104:107], off offset:160
	v_mul_f64 v[104:105], v[22:23], s[28:29]
	v_fma_f64 v[150:151], v[68:69], s[18:19], -v[144:145]
	v_fma_f64 v[144:145], v[68:69], s[18:19], v[144:145]
	s_delay_alu instid0(VALU_DEP_3) | instskip(SKIP_1) | instid1(VALU_DEP_2)
	v_fma_f64 v[106:107], v[20:21], s[20:21], -v[104:105]
	v_fma_f64 v[104:105], v[20:21], s[20:21], v[104:105]
	v_add_f64 v[106:107], v[228:229], v[106:107]
	s_delay_alu instid0(VALU_DEP_2) | instskip(NEXT) | instid1(VALU_DEP_2)
	v_add_f64 v[104:105], v[228:229], v[104:105]
	v_add_f64 v[106:107], v[150:151], v[106:107]
	v_mul_f64 v[150:151], v[74:75], s[28:29]
	s_delay_alu instid0(VALU_DEP_3) | instskip(NEXT) | instid1(VALU_DEP_2)
	v_add_f64 v[104:105], v[144:145], v[104:105]
	v_fma_f64 v[156:157], v[70:71], s[20:21], v[150:151]
	v_fma_f64 v[144:145], v[70:71], s[20:21], -v[150:151]
	v_fma_f64 v[150:151], v[72:73], s[18:19], -v[158:159]
	v_mul_f64 v[158:159], v[78:79], s[44:45]
	v_mul_f64 v[78:79], v[78:79], s[46:47]
	v_add_f64 v[156:157], v[230:231], v[156:157]
	v_add_f64 v[144:145], v[230:231], v[144:145]
	s_delay_alu instid0(VALU_DEP_2) | instskip(SKIP_1) | instid1(VALU_DEP_3)
	v_add_f64 v[156:157], v[164:165], v[156:157]
	v_mul_f64 v[164:165], v[84:85], s[24:25]
	v_add_f64 v[144:145], v[150:151], v[144:145]
	s_delay_alu instid0(VALU_DEP_2) | instskip(SKIP_2) | instid1(VALU_DEP_3)
	v_fma_f64 v[166:167], v[80:81], s[0:1], -v[164:165]
	v_fma_f64 v[150:151], v[80:81], s[0:1], v[164:165]
	v_fma_f64 v[164:165], v[72:73], s[14:15], v[158:159]
	v_add_f64 v[106:107], v[166:167], v[106:107]
	v_mul_f64 v[166:167], v[86:87], s[24:25]
	s_delay_alu instid0(VALU_DEP_4) | instskip(NEXT) | instid1(VALU_DEP_2)
	v_add_f64 v[104:105], v[150:151], v[104:105]
	v_fma_f64 v[172:173], v[82:83], s[0:1], v[166:167]
	v_fma_f64 v[150:151], v[82:83], s[0:1], -v[166:167]
	s_delay_alu instid0(VALU_DEP_2) | instskip(SKIP_1) | instid1(VALU_DEP_3)
	v_add_f64 v[156:157], v[172:173], v[156:157]
	v_mul_f64 v[172:173], v[92:93], s[34:35]
	v_add_f64 v[144:145], v[150:151], v[144:145]
	s_delay_alu instid0(VALU_DEP_2) | instskip(SKIP_1) | instid1(VALU_DEP_2)
	v_fma_f64 v[174:175], v[88:89], s[26:27], -v[172:173]
	v_fma_f64 v[150:151], v[88:89], s[26:27], v[172:173]
	v_add_f64 v[106:107], v[174:175], v[106:107]
	v_mul_f64 v[174:175], v[94:95], s[34:35]
	s_delay_alu instid0(VALU_DEP_3) | instskip(NEXT) | instid1(VALU_DEP_2)
	v_add_f64 v[104:105], v[150:151], v[104:105]
	v_fma_f64 v[176:177], v[90:91], s[26:27], v[174:175]
	v_fma_f64 v[150:151], v[90:91], s[26:27], -v[174:175]
	s_delay_alu instid0(VALU_DEP_2) | instskip(SKIP_1) | instid1(VALU_DEP_3)
	v_add_f64 v[156:157], v[176:177], v[156:157]
	v_mul_f64 v[176:177], v[100:101], s[52:53]
	v_add_f64 v[144:145], v[150:151], v[144:145]
	s_delay_alu instid0(VALU_DEP_2) | instskip(SKIP_1) | instid1(VALU_DEP_2)
	v_fma_f64 v[178:179], v[96:97], s[16:17], -v[176:177]
	v_fma_f64 v[150:151], v[96:97], s[16:17], v[176:177]
	v_add_f64 v[106:107], v[178:179], v[106:107]
	v_mul_f64 v[178:179], v[102:103], s[52:53]
	s_delay_alu instid0(VALU_DEP_3) | instskip(NEXT) | instid1(VALU_DEP_2)
	;; [unrolled: 13-line block ×5, first 2 shown]
	v_add_f64 v[104:105], v[150:151], v[104:105]
	v_fma_f64 v[198:199], v[148:149], s[14:15], v[106:107]
	v_fma_f64 v[106:107], v[148:149], s[14:15], -v[106:107]
	s_delay_alu instid0(VALU_DEP_2) | instskip(NEXT) | instid1(VALU_DEP_2)
	v_add_f64 v[202:203], v[198:199], v[156:157]
	v_add_f64 v[106:107], v[106:107], v[144:145]
	v_mul_f64 v[144:145], v[76:77], s[44:45]
	v_mul_f64 v[76:77], v[76:77], s[46:47]
	s_clause 0x1
	scratch_store_b128 off, v[200:203], off offset:176
	scratch_store_b128 off, v[104:107], off offset:192
	v_mul_f64 v[104:105], v[22:23], s[34:35]
	v_fma_f64 v[150:151], v[68:69], s[14:15], -v[144:145]
	v_fma_f64 v[144:145], v[68:69], s[14:15], v[144:145]
	v_mul_f64 v[22:23], v[22:23], s[38:39]
	s_delay_alu instid0(VALU_DEP_4) | instskip(SKIP_1) | instid1(VALU_DEP_2)
	v_fma_f64 v[106:107], v[20:21], s[26:27], -v[104:105]
	v_fma_f64 v[104:105], v[20:21], s[26:27], v[104:105]
	v_add_f64 v[106:107], v[228:229], v[106:107]
	s_delay_alu instid0(VALU_DEP_2) | instskip(NEXT) | instid1(VALU_DEP_2)
	v_add_f64 v[104:105], v[228:229], v[104:105]
	v_add_f64 v[106:107], v[150:151], v[106:107]
	v_mul_f64 v[150:151], v[74:75], s[34:35]
	s_delay_alu instid0(VALU_DEP_3) | instskip(SKIP_1) | instid1(VALU_DEP_3)
	v_add_f64 v[104:105], v[144:145], v[104:105]
	v_mul_f64 v[74:75], v[74:75], s[38:39]
	v_fma_f64 v[156:157], v[70:71], s[26:27], v[150:151]
	v_fma_f64 v[144:145], v[70:71], s[26:27], -v[150:151]
	v_fma_f64 v[150:151], v[72:73], s[14:15], -v[158:159]
	s_delay_alu instid0(VALU_DEP_3) | instskip(NEXT) | instid1(VALU_DEP_3)
	v_add_f64 v[156:157], v[230:231], v[156:157]
	v_add_f64 v[144:145], v[230:231], v[144:145]
	s_delay_alu instid0(VALU_DEP_2) | instskip(SKIP_1) | instid1(VALU_DEP_3)
	v_add_f64 v[156:157], v[164:165], v[156:157]
	v_mul_f64 v[164:165], v[84:85], s[36:37]
	v_add_f64 v[144:145], v[150:151], v[144:145]
	v_mul_f64 v[84:85], v[84:85], s[34:35]
	s_delay_alu instid0(VALU_DEP_3) | instskip(SKIP_1) | instid1(VALU_DEP_2)
	v_fma_f64 v[166:167], v[80:81], s[16:17], -v[164:165]
	v_fma_f64 v[150:151], v[80:81], s[16:17], v[164:165]
	v_add_f64 v[106:107], v[166:167], v[106:107]
	v_mul_f64 v[166:167], v[86:87], s[36:37]
	s_delay_alu instid0(VALU_DEP_3) | instskip(SKIP_1) | instid1(VALU_DEP_3)
	v_add_f64 v[104:105], v[150:151], v[104:105]
	v_mul_f64 v[86:87], v[86:87], s[34:35]
	v_fma_f64 v[172:173], v[82:83], s[16:17], v[166:167]
	v_fma_f64 v[150:151], v[82:83], s[16:17], -v[166:167]
	s_delay_alu instid0(VALU_DEP_2) | instskip(SKIP_1) | instid1(VALU_DEP_3)
	v_add_f64 v[156:157], v[172:173], v[156:157]
	v_mul_f64 v[172:173], v[92:93], s[56:57]
	v_add_f64 v[144:145], v[150:151], v[144:145]
	v_mul_f64 v[92:93], v[92:93], s[48:49]
	s_delay_alu instid0(VALU_DEP_3) | instskip(SKIP_1) | instid1(VALU_DEP_2)
	v_fma_f64 v[174:175], v[88:89], s[20:21], -v[172:173]
	v_fma_f64 v[150:151], v[88:89], s[20:21], v[172:173]
	v_add_f64 v[106:107], v[174:175], v[106:107]
	v_mul_f64 v[174:175], v[94:95], s[56:57]
	s_delay_alu instid0(VALU_DEP_3) | instskip(SKIP_1) | instid1(VALU_DEP_3)
	v_add_f64 v[104:105], v[150:151], v[104:105]
	v_mul_f64 v[94:95], v[94:95], s[48:49]
	v_fma_f64 v[176:177], v[90:91], s[20:21], v[174:175]
	v_fma_f64 v[150:151], v[90:91], s[20:21], -v[174:175]
	;; [unrolled: 15-line block ×6, first 2 shown]
	s_delay_alu instid0(VALU_DEP_2) | instskip(NEXT) | instid1(VALU_DEP_2)
	v_add_f64 v[202:203], v[198:199], v[156:157]
	v_add_f64 v[106:107], v[106:107], v[144:145]
	v_fma_f64 v[144:145], v[72:73], s[0:1], v[78:79]
	s_clause 0x1
	scratch_store_b128 off, v[200:203], off offset:208
	scratch_store_b128 off, v[104:107], off offset:224
	v_fma_f64 v[104:105], v[20:21], s[30:31], -v[22:23]
	v_fma_f64 v[106:107], v[68:69], s[0:1], -v[76:77]
	v_fma_f64 v[20:21], v[20:21], s[30:31], v[22:23]
	v_fma_f64 v[22:23], v[70:71], s[30:31], -v[74:75]
	v_fma_f64 v[68:69], v[68:69], s[0:1], v[76:77]
	v_add_f64 v[104:105], v[228:229], v[104:105]
	s_delay_alu instid0(VALU_DEP_4) | instskip(NEXT) | instid1(VALU_DEP_4)
	v_add_f64 v[20:21], v[228:229], v[20:21]
	v_add_f64 v[22:23], v[230:231], v[22:23]
	s_delay_alu instid0(VALU_DEP_3) | instskip(SKIP_1) | instid1(VALU_DEP_4)
	v_add_f64 v[104:105], v[106:107], v[104:105]
	v_fma_f64 v[106:107], v[70:71], s[30:31], v[74:75]
	v_add_f64 v[20:21], v[68:69], v[20:21]
	v_fma_f64 v[68:69], v[72:73], s[0:1], -v[78:79]
	v_fma_f64 v[70:71], v[82:83], s[26:27], -v[86:87]
	s_delay_alu instid0(VALU_DEP_4) | instskip(NEXT) | instid1(VALU_DEP_3)
	v_add_f64 v[106:107], v[230:231], v[106:107]
	v_add_f64 v[22:23], v[68:69], v[22:23]
	v_fma_f64 v[68:69], v[80:81], s[26:27], v[84:85]
	s_delay_alu instid0(VALU_DEP_3) | instskip(SKIP_1) | instid1(VALU_DEP_4)
	v_add_f64 v[106:107], v[144:145], v[106:107]
	v_fma_f64 v[144:145], v[80:81], s[26:27], -v[84:85]
	v_add_f64 v[22:23], v[70:71], v[22:23]
	s_delay_alu instid0(VALU_DEP_4) | instskip(SKIP_4) | instid1(VALU_DEP_4)
	v_add_f64 v[20:21], v[68:69], v[20:21]
	v_fma_f64 v[68:69], v[88:89], s[12:13], v[92:93]
	v_fma_f64 v[70:71], v[90:91], s[12:13], -v[94:95]
	v_add_f64 v[104:105], v[144:145], v[104:105]
	v_fma_f64 v[144:145], v[82:83], s[26:27], v[86:87]
	v_add_f64 v[20:21], v[68:69], v[20:21]
	s_delay_alu instid0(VALU_DEP_4) | instskip(SKIP_4) | instid1(VALU_DEP_4)
	v_add_f64 v[22:23], v[70:71], v[22:23]
	v_fma_f64 v[68:69], v[96:97], s[20:21], v[100:101]
	v_fma_f64 v[70:71], v[98:99], s[20:21], -v[102:103]
	v_add_f64 v[106:107], v[144:145], v[106:107]
	v_fma_f64 v[144:145], v[88:89], s[12:13], -v[92:93]
	v_add_f64 v[20:21], v[68:69], v[20:21]
	s_delay_alu instid0(VALU_DEP_4) | instskip(SKIP_4) | instid1(VALU_DEP_4)
	v_add_f64 v[22:23], v[70:71], v[22:23]
	v_fma_f64 v[68:69], v[128:129], s[14:15], v[132:133]
	v_fma_f64 v[70:71], v[130:131], s[14:15], -v[134:135]
	v_add_f64 v[104:105], v[144:145], v[104:105]
	v_fma_f64 v[144:145], v[90:91], s[12:13], v[94:95]
	v_add_f64 v[20:21], v[68:69], v[20:21]
	s_delay_alu instid0(VALU_DEP_4) | instskip(SKIP_4) | instid1(VALU_DEP_4)
	v_add_f64 v[22:23], v[70:71], v[22:23]
	v_fma_f64 v[68:69], v[136:137], s[18:19], v[140:141]
	v_fma_f64 v[70:71], v[138:139], s[18:19], -v[142:143]
	v_add_f64 v[106:107], v[144:145], v[106:107]
	v_fma_f64 v[144:145], v[96:97], s[20:21], -v[100:101]
	v_add_f64 v[20:21], v[68:69], v[20:21]
	s_delay_alu instid0(VALU_DEP_4) | instskip(NEXT) | instid1(VALU_DEP_3)
	v_add_f64 v[22:23], v[70:71], v[22:23]
	v_add_f64 v[104:105], v[144:145], v[104:105]
	v_fma_f64 v[144:145], v[98:99], s[20:21], v[102:103]
	s_delay_alu instid0(VALU_DEP_1) | instskip(SKIP_1) | instid1(VALU_DEP_1)
	v_add_f64 v[106:107], v[144:145], v[106:107]
	v_fma_f64 v[144:145], v[128:129], s[14:15], -v[132:133]
	v_add_f64 v[104:105], v[144:145], v[104:105]
	v_fma_f64 v[144:145], v[130:131], s[14:15], v[134:135]
	s_delay_alu instid0(VALU_DEP_1) | instskip(SKIP_1) | instid1(VALU_DEP_1)
	v_add_f64 v[106:107], v[144:145], v[106:107]
	v_fma_f64 v[144:145], v[136:137], s[18:19], -v[140:141]
	v_add_f64 v[104:105], v[144:145], v[104:105]
	v_fma_f64 v[144:145], v[138:139], s[18:19], v[142:143]
	s_delay_alu instid0(VALU_DEP_1) | instskip(SKIP_2) | instid1(VALU_DEP_2)
	v_add_f64 v[106:107], v[144:145], v[106:107]
	v_fma_f64 v[144:145], v[146:147], s[16:17], -v[8:9]
	v_fma_f64 v[8:9], v[146:147], s[16:17], v[8:9]
	v_add_f64 v[156:157], v[144:145], v[104:105]
	v_fma_f64 v[104:105], v[148:149], s[16:17], v[10:11]
	v_fma_f64 v[10:11], v[148:149], s[16:17], -v[10:11]
	s_delay_alu instid0(VALU_DEP_4) | instskip(NEXT) | instid1(VALU_DEP_3)
	v_add_f64 v[8:9], v[8:9], v[20:21]
	v_add_f64 v[158:159], v[104:105], v[106:107]
	s_delay_alu instid0(VALU_DEP_3)
	v_add_f64 v[10:11], v[10:11], v[22:23]
	s_clause 0x1
	scratch_store_b128 off, v[156:159], off offset:240
	scratch_store_b128 off, v[8:11], off offset:256
	s_clause 0x1
	scratch_load_b32 v8, off, off offset:1036
	scratch_load_b32 v9, off, off offset:1072
	s_waitcnt vmcnt(0)
	s_waitcnt_vscnt null, 0x0
	s_barrier
	buffer_gl0_inv
	v_and_b32_e32 v8, 0xffff, v8
	s_delay_alu instid0(VALU_DEP_1) | instskip(NEXT) | instid1(VALU_DEP_1)
	v_mul_u32_u24_e32 v8, 0x77, v8
	v_add_nc_u32_e32 v8, v8, v9
	s_delay_alu instid0(VALU_DEP_1)
	v_lshl_add_u32 v8, v8, 4, v208
	ds_store_b128 v8, v[4:7]
	scratch_load_b128 v[4:7], off, off offset:1312 ; 16-byte Folded Reload
	s_waitcnt vmcnt(0)
	ds_store_b128 v8, v[4:7] offset:112
	scratch_load_b128 v[4:7], off, off offset:1936 ; 16-byte Folded Reload
	s_waitcnt vmcnt(0)
	ds_store_b128 v8, v[4:7] offset:224
	;; [unrolled: 3-line block ×4, first 2 shown]
	ds_store_b128 v8, v[44:47] offset:560
	ds_store_b128 v8, v[52:55] offset:672
	;; [unrolled: 1-line block ×8, first 2 shown]
	scratch_load_b128 v[0:3], off, off offset:1984 ; 16-byte Folded Reload
	scratch_store_b32 off, v8, off offset:1312 ; 4-byte Folded Spill
	s_waitcnt vmcnt(0)
	ds_store_b128 v8, v[0:3] offset:1456
	scratch_load_b128 v[0:3], off, off offset:1952 ; 16-byte Folded Reload
	s_waitcnt vmcnt(0)
	ds_store_b128 v8, v[0:3] offset:1568
	scratch_load_b128 v[0:3], off, off offset:1920 ; 16-byte Folded Reload
	;; [unrolled: 3-line block ×3, first 2 shown]
	s_waitcnt vmcnt(0)
	ds_store_b128 v8, v[0:3] offset:1792
	s_clause 0x1
	scratch_load_b32 v0, off, off offset:1088
	scratch_load_b32 v1, off, off offset:1120
	s_waitcnt vmcnt(1)
	v_and_b32_e32 v0, 0xffff, v0
	s_delay_alu instid0(VALU_DEP_1) | instskip(SKIP_1) | instid1(VALU_DEP_1)
	v_mul_u32_u24_e32 v0, 0x77, v0
	s_waitcnt vmcnt(0)
	v_add_nc_u32_e32 v0, v0, v1
	s_delay_alu instid0(VALU_DEP_1)
	v_lshl_add_u32 v255, v0, 4, v208
	ds_store_b128 v255, v[112:115]
	ds_store_b128 v255, v[180:183] offset:112
	ds_store_b128 v255, v[168:171] offset:224
	;; [unrolled: 1-line block ×16, first 2 shown]
	scratch_load_b32 v0, off, off offset:1136 ; 4-byte Folded Reload
	s_waitcnt vmcnt(0)
	v_and_b32_e32 v0, 0xff, v0
	scratch_store_b32 off, v0, off offset:1036 ; 4-byte Folded Spill
	s_and_saveexec_b32 s0, vcc_lo
	s_cbranch_execz .LBB0_5
; %bb.4:
	s_clause 0x1
	scratch_load_b64 v[0:1], off, off offset:2048
	scratch_load_b64 v[4:5], off, off offset:8
	v_add_f64 v[2:3], v[228:229], v[204:205]
	s_delay_alu instid0(VALU_DEP_1) | instskip(SKIP_2) | instid1(VALU_DEP_1)
	v_add_f64 v[2:3], v[2:3], v[206:207]
	s_waitcnt vmcnt(1)
	v_add_f64 v[0:1], v[230:231], v[0:1]
	v_add_f64 v[0:1], v[0:1], v[209:210]
	s_waitcnt vmcnt(0)
	s_delay_alu instid0(VALU_DEP_1)
	v_add_f64 v[0:1], v[0:1], v[4:5]
	scratch_load_b64 v[4:5], off, off offset:272 ; 8-byte Folded Reload
	s_waitcnt vmcnt(0)
	v_add_f64 v[2:3], v[2:3], v[4:5]
	scratch_load_b64 v[4:5], off, off offset:304 ; 8-byte Folded Reload
	s_waitcnt vmcnt(0)
	v_add_f64 v[0:1], v[0:1], v[4:5]
	scratch_load_b64 v[4:5], off, off offset:288 ; 8-byte Folded Reload
	v_add_f64 v[0:1], v[0:1], v[219:220]
	s_delay_alu instid0(VALU_DEP_1) | instskip(NEXT) | instid1(VALU_DEP_1)
	v_add_f64 v[0:1], v[0:1], v[226:227]
	v_add_f64 v[0:1], v[0:1], v[217:218]
	s_delay_alu instid0(VALU_DEP_1) | instskip(NEXT) | instid1(VALU_DEP_1)
	v_add_f64 v[0:1], v[0:1], v[24:25]
	;; [unrolled: 3-line block ×3, first 2 shown]
	v_add_f64 v[0:1], v[0:1], v[38:39]
	s_delay_alu instid0(VALU_DEP_1) | instskip(SKIP_4) | instid1(VALU_DEP_1)
	v_add_f64 v[0:1], v[0:1], v[42:43]
	s_waitcnt vmcnt(0)
	v_add_f64 v[2:3], v[2:3], v[4:5]
	scratch_load_b64 v[4:5], off, off offset:320 ; 8-byte Folded Reload
	v_add_f64 v[2:3], v[2:3], v[211:212]
	v_add_f64 v[2:3], v[2:3], v[215:216]
	s_delay_alu instid0(VALU_DEP_1) | instskip(NEXT) | instid1(VALU_DEP_1)
	v_add_f64 v[2:3], v[2:3], v[213:214]
	v_add_f64 v[2:3], v[2:3], v[192:193]
	s_delay_alu instid0(VALU_DEP_1) | instskip(NEXT) | instid1(VALU_DEP_1)
	v_add_f64 v[2:3], v[2:3], v[194:195]
	v_add_f64 v[2:3], v[2:3], v[28:29]
	s_delay_alu instid0(VALU_DEP_1) | instskip(SKIP_1) | instid1(VALU_DEP_1)
	v_add_f64 v[2:3], v[2:3], v[40:41]
	s_waitcnt vmcnt(0)
	v_add_f64 v[2:3], v[2:3], v[4:5]
	scratch_load_b64 v[4:5], off, off offset:352 ; 8-byte Folded Reload
	s_waitcnt vmcnt(0)
	v_add_f64 v[0:1], v[0:1], v[4:5]
	scratch_load_b64 v[4:5], off, off offset:336 ; 8-byte Folded Reload
	;; [unrolled: 3-line block ×8, first 2 shown]
	s_waitcnt vmcnt(0)
	v_add_f64 v[0:1], v[4:5], v[0:1]
	s_clause 0x1
	scratch_load_b32 v4, off, off offset:1036
	scratch_load_b128 v[5:8], off, off offset:16
	s_waitcnt vmcnt(1)
	v_lshl_add_u32 v4, v4, 4, v208
	s_waitcnt vmcnt(0)
	ds_store_b128 v4, v[5:8] offset:7840
	scratch_load_b128 v[5:8], off, off offset:80 ; 16-byte Folded Reload
	s_waitcnt vmcnt(0)
	ds_store_b128 v4, v[5:8] offset:7952
	scratch_load_b128 v[5:8], off, off offset:112 ; 16-byte Folded Reload
	;; [unrolled: 3-line block ×14, first 2 shown]
	s_waitcnt vmcnt(0)
	ds_store_b128 v4, v[5:8] offset:7728
	ds_store_b128 v4, v[0:3] offset:7616
	scratch_load_b128 v[0:3], off, off offset:96 ; 16-byte Folded Reload
	s_waitcnt vmcnt(0)
	ds_store_b128 v4, v[0:3] offset:9408
.LBB0_5:
	s_or_b32 exec_lo, exec_lo, s0
	scratch_load_b32 v162, off, off         ; 4-byte Folded Reload
	v_lshlrev_b32_e32 v1, 6, v253
	s_waitcnt vmcnt(0) lgkmcnt(0)
	s_waitcnt_vscnt null, 0x0
	s_barrier
	buffer_gl0_inv
	s_mov_b32 s14, 0x134454ff
	s_mov_b32 s15, 0x3fee6f0e
	;; [unrolled: 1-line block ×8, first 2 shown]
	s_add_u32 s8, s8, 0x2530
	s_addc_u32 s9, s9, 0
	s_mov_b32 s20, 0x37e14327
	s_mov_b32 s21, 0x3fe948f6
	;; [unrolled: 1-line block ×6, first 2 shown]
	v_lshlrev_b32_e32 v0, 6, v162
	s_clause 0x7
	global_load_b128 v[57:60], v0, s[10:11] offset:1792
	global_load_b128 v[49:52], v0, s[10:11] offset:1808
	;; [unrolled: 1-line block ×8, first 2 shown]
	scratch_load_b32 v1, off, off offset:1056 ; 4-byte Folded Reload
	s_waitcnt vmcnt(0)
	v_lshlrev_b32_e32 v1, 6, v1
	s_clause 0x3
	global_load_b128 v[85:88], v1, s[10:11] offset:1792
	global_load_b128 v[81:84], v1, s[10:11] offset:1808
	;; [unrolled: 1-line block ×4, first 2 shown]
	ds_load_b128 v[1:4], v252 offset:1904
	ds_load_b128 v[5:8], v252 offset:3808
	;; [unrolled: 1-line block ×6, first 2 shown]
	s_clause 0x3
	scratch_store_b128 off, v[49:52], off offset:288
	scratch_store_b128 off, v[53:56], off offset:272
	scratch_store_b128 off, v[57:60], off offset:304
	scratch_store_b128 off, v[61:64], off offset:320
	ds_load_b128 v[21:24], v252 offset:4080
	s_clause 0x3
	scratch_store_b128 off, v[73:76], off offset:368
	scratch_store_b128 off, v[77:80], off offset:384
	;; [unrolled: 1-line block ×4, first 2 shown]
	s_waitcnt lgkmcnt(6)
	v_mul_f64 v[29:30], v[3:4], v[59:60]
	v_mul_f64 v[31:32], v[1:2], v[59:60]
	s_waitcnt lgkmcnt(5)
	v_mul_f64 v[33:34], v[7:8], v[51:52]
	v_mul_f64 v[35:36], v[5:6], v[51:52]
	s_waitcnt lgkmcnt(4)
	v_mul_f64 v[37:38], v[11:12], v[55:56]
	v_mul_f64 v[39:40], v[9:10], v[55:56]
	v_fma_f64 v[29:30], v[1:2], v[57:58], -v[29:30]
	v_fma_f64 v[31:32], v[3:4], v[57:58], v[31:32]
	ds_load_b128 v[1:4], v252 offset:7888
	s_waitcnt lgkmcnt(4)
	v_mul_f64 v[41:42], v[15:16], v[63:64]
	v_mul_f64 v[43:44], v[13:14], v[63:64]
	v_fma_f64 v[33:34], v[5:6], v[49:50], -v[33:34]
	v_fma_f64 v[35:36], v[7:8], v[49:50], v[35:36]
	ds_load_b128 v[5:8], v252 offset:2448
	s_waitcnt lgkmcnt(4)
	v_mul_f64 v[45:46], v[19:20], v[75:76]
	v_mul_f64 v[47:48], v[17:18], v[75:76]
	;; [unrolled: 6-line block ×3, first 2 shown]
	v_fma_f64 v[128:129], v[13:14], v[61:62], -v[41:42]
	v_fma_f64 v[130:131], v[15:16], v[61:62], v[43:44]
	s_waitcnt lgkmcnt(2)
	v_mul_f64 v[13:14], v[3:4], v[79:80]
	v_mul_f64 v[15:16], v[1:2], v[79:80]
	v_fma_f64 v[44:45], v[17:18], v[73:74], -v[45:46]
	v_fma_f64 v[46:47], v[19:20], v[73:74], v[47:48]
	v_fma_f64 v[132:133], v[25:26], v[65:66], -v[39:40]
	v_fma_f64 v[134:135], v[27:28], v[65:66], v[55:56]
	v_add_f64 v[26:27], v[33:34], -v[37:38]
	v_fma_f64 v[136:137], v[1:2], v[77:78], -v[13:14]
	v_fma_f64 v[138:139], v[3:4], v[77:78], v[15:16]
	ds_load_b128 v[1:4], v252 offset:6256
	s_waitcnt vmcnt(3) lgkmcnt(2)
	v_mul_f64 v[17:18], v[7:8], v[87:88]
	v_mul_f64 v[19:20], v[5:6], v[87:88]
	s_waitcnt vmcnt(2) lgkmcnt(1)
	v_mul_f64 v[13:14], v[11:12], v[83:84]
	v_mul_f64 v[15:16], v[9:10], v[83:84]
	s_waitcnt vmcnt(1)
	scratch_store_b128 off, v[93:96], off offset:448 ; 16-byte Folded Spill
	s_waitcnt vmcnt(0)
	s_clause 0x2
	scratch_store_b128 off, v[89:92], off offset:432
	scratch_store_b128 off, v[85:88], off offset:416
	;; [unrolled: 1-line block ×3, first 2 shown]
	v_fma_f64 v[42:43], v[5:6], v[85:86], -v[17:18]
	v_fma_f64 v[40:41], v[7:8], v[85:86], v[19:20]
	s_waitcnt lgkmcnt(0)
	v_mul_f64 v[5:6], v[3:4], v[95:96]
	v_mul_f64 v[7:8], v[1:2], v[95:96]
	v_fma_f64 v[62:63], v[9:10], v[81:82], -v[13:14]
	v_fma_f64 v[58:59], v[11:12], v[81:82], v[15:16]
	s_delay_alu instid0(VALU_DEP_4) | instskip(NEXT) | instid1(VALU_DEP_4)
	v_fma_f64 v[60:61], v[1:2], v[93:94], -v[5:6]
	v_fma_f64 v[56:57], v[3:4], v[93:94], v[7:8]
	ds_load_b128 v[1:4], v252 offset:8160
	s_waitcnt lgkmcnt(0)
	v_mul_f64 v[5:6], v[3:4], v[91:92]
	v_add_f64 v[142:143], v[62:63], -v[60:61]
	s_delay_alu instid0(VALU_DEP_2) | instskip(SKIP_1) | instid1(VALU_DEP_1)
	v_fma_f64 v[104:105], v[1:2], v[89:90], -v[5:6]
	v_mul_f64 v[1:2], v[1:2], v[91:92]
	v_fma_f64 v[106:107], v[3:4], v[89:90], v[1:2]
	scratch_load_b32 v1, off, off offset:1040 ; 4-byte Folded Reload
	s_waitcnt vmcnt(0)
	v_lshlrev_b32_e32 v7, 6, v1
	ds_load_b128 v[1:4], v252 offset:2720
	v_mul_f64 v[49:50], v[23:24], v[71:72]
	v_mul_f64 v[51:52], v[21:22], v[71:72]
	global_load_b128 v[8:11], v7, s[10:11] offset:1792
	v_fma_f64 v[48:49], v[21:22], v[69:70], -v[49:50]
	v_fma_f64 v[50:51], v[23:24], v[69:70], v[51:52]
	v_add_f64 v[20:21], v[31:32], -v[130:131]
	v_add_f64 v[22:23], v[35:36], -v[53:54]
	v_add_f64 v[24:25], v[29:30], -v[128:129]
	v_add_f64 v[140:141], v[48:49], -v[44:45]
	s_waitcnt vmcnt(0) lgkmcnt(0)
	v_mul_f64 v[5:6], v[3:4], v[10:11]
	scratch_store_b128 off, v[8:11], off offset:1040 ; 16-byte Folded Spill
	v_fma_f64 v[114:115], v[1:2], v[8:9], -v[5:6]
	v_mul_f64 v[1:2], v[1:2], v[10:11]
	s_delay_alu instid0(VALU_DEP_1)
	v_fma_f64 v[112:113], v[3:4], v[8:9], v[1:2]
	global_load_b128 v[8:11], v7, s[10:11] offset:1808
	ds_load_b128 v[1:4], v252 offset:4624
	s_waitcnt vmcnt(0) lgkmcnt(0)
	v_mul_f64 v[5:6], v[3:4], v[10:11]
	scratch_store_b128 off, v[8:11], off offset:1056 ; 16-byte Folded Spill
	v_fma_f64 v[120:121], v[1:2], v[8:9], -v[5:6]
	v_mul_f64 v[1:2], v[1:2], v[10:11]
	s_delay_alu instid0(VALU_DEP_1)
	v_fma_f64 v[116:117], v[3:4], v[8:9], v[1:2]
	global_load_b128 v[8:11], v7, s[10:11] offset:1824
	ds_load_b128 v[1:4], v252 offset:6528
	s_waitcnt vmcnt(0) lgkmcnt(0)
	v_mul_f64 v[5:6], v[3:4], v[10:11]
	scratch_store_b128 off, v[8:11], off offset:1072 ; 16-byte Folded Spill
	v_fma_f64 v[122:123], v[1:2], v[8:9], -v[5:6]
	v_mul_f64 v[1:2], v[1:2], v[10:11]
	s_delay_alu instid0(VALU_DEP_2) | instskip(NEXT) | instid1(VALU_DEP_2)
	v_add_f64 v[146:147], v[120:121], -v[122:123]
	v_fma_f64 v[118:119], v[3:4], v[8:9], v[1:2]
	global_load_b128 v[7:10], v7, s[10:11] offset:1840
	ds_load_b128 v[1:4], v252 offset:8432
	s_waitcnt vmcnt(0) lgkmcnt(0)
	v_mul_f64 v[5:6], v[3:4], v[9:10]
	scratch_store_b128 off, v[7:10], off offset:1088 ; 16-byte Folded Spill
	v_fma_f64 v[124:125], v[1:2], v[7:8], -v[5:6]
	v_mul_f64 v[1:2], v[1:2], v[9:10]
	s_delay_alu instid0(VALU_DEP_2) | instskip(NEXT) | instid1(VALU_DEP_2)
	v_add_f64 v[144:145], v[114:115], -v[124:125]
	v_fma_f64 v[126:127], v[3:4], v[7:8], v[1:2]
	scratch_load_b32 v1, off, off offset:1104 ; 4-byte Folded Reload
	s_waitcnt vmcnt(0)
	v_lshlrev_b32_e32 v7, 6, v1
	ds_load_b128 v[1:4], v252 offset:2992
	global_load_b128 v[8:11], v7, s[10:11] offset:1792
	s_waitcnt vmcnt(0) lgkmcnt(0)
	v_mul_f64 v[5:6], v[3:4], v[10:11]
	scratch_store_b128 off, v[8:11], off offset:1104 ; 16-byte Folded Spill
	v_fma_f64 v[94:95], v[1:2], v[8:9], -v[5:6]
	v_mul_f64 v[1:2], v[1:2], v[10:11]
	s_delay_alu instid0(VALU_DEP_1)
	v_fma_f64 v[92:93], v[3:4], v[8:9], v[1:2]
	global_load_b128 v[8:11], v7, s[10:11] offset:1808
	ds_load_b128 v[1:4], v252 offset:4896
	s_waitcnt vmcnt(0) lgkmcnt(0)
	v_mul_f64 v[5:6], v[3:4], v[10:11]
	scratch_store_b128 off, v[8:11], off offset:1120 ; 16-byte Folded Spill
	v_fma_f64 v[98:99], v[1:2], v[8:9], -v[5:6]
	v_mul_f64 v[1:2], v[1:2], v[10:11]
	s_delay_alu instid0(VALU_DEP_2) | instskip(NEXT) | instid1(VALU_DEP_2)
	v_add_f64 v[152:153], v[98:99], -v[94:95]
	v_fma_f64 v[96:97], v[3:4], v[8:9], v[1:2]
	global_load_b128 v[8:11], v7, s[10:11] offset:1824
	ds_load_b128 v[1:4], v252 offset:6800
	s_waitcnt vmcnt(0) lgkmcnt(0)
	v_mul_f64 v[5:6], v[3:4], v[10:11]
	scratch_store_b128 off, v[8:11], off offset:1136 ; 16-byte Folded Spill
	v_fma_f64 v[102:103], v[1:2], v[8:9], -v[5:6]
	v_mul_f64 v[1:2], v[1:2], v[10:11]
	s_delay_alu instid0(VALU_DEP_2) | instskip(NEXT) | instid1(VALU_DEP_2)
	v_add_f64 v[150:151], v[98:99], -v[102:103]
	;; [unrolled: 10-line block ×3, first 2 shown]
	v_fma_f64 v[110:111], v[3:4], v[7:8], v[1:2]
	v_add_nc_u32_e32 v7, 0x1540, v0
	ds_load_b128 v[1:4], v252 offset:3264
	global_load_b128 v[8:11], v7, s[10:11] offset:1792
	s_waitcnt vmcnt(0) lgkmcnt(0)
	v_mul_f64 v[5:6], v[3:4], v[10:11]
	scratch_store_b128 off, v[8:11], off offset:1168 ; 16-byte Folded Spill
	v_fma_f64 v[74:75], v[1:2], v[8:9], -v[5:6]
	v_mul_f64 v[1:2], v[1:2], v[10:11]
	s_delay_alu instid0(VALU_DEP_1)
	v_fma_f64 v[72:73], v[3:4], v[8:9], v[1:2]
	global_load_b128 v[8:11], v7, s[10:11] offset:1808
	ds_load_b128 v[1:4], v252 offset:5168
	s_waitcnt vmcnt(0) lgkmcnt(0)
	v_mul_f64 v[5:6], v[3:4], v[10:11]
	scratch_store_b128 off, v[8:11], off offset:1184 ; 16-byte Folded Spill
	v_fma_f64 v[80:81], v[1:2], v[8:9], -v[5:6]
	v_mul_f64 v[1:2], v[1:2], v[10:11]
	s_delay_alu instid0(VALU_DEP_2) | instskip(NEXT) | instid1(VALU_DEP_2)
	v_add_f64 v[156:157], v[80:81], -v[74:75]
	v_fma_f64 v[78:79], v[3:4], v[8:9], v[1:2]
	global_load_b128 v[8:11], v7, s[10:11] offset:1824
	ds_load_b128 v[1:4], v252 offset:7072
	s_waitcnt vmcnt(0) lgkmcnt(0)
	v_mul_f64 v[5:6], v[3:4], v[10:11]
	scratch_store_b128 off, v[8:11], off offset:1200 ; 16-byte Folded Spill
	v_fma_f64 v[86:87], v[1:2], v[8:9], -v[5:6]
	v_mul_f64 v[1:2], v[1:2], v[10:11]
	s_delay_alu instid0(VALU_DEP_2) | instskip(NEXT) | instid1(VALU_DEP_2)
	v_add_f64 v[154:155], v[80:81], -v[86:87]
	v_fma_f64 v[84:85], v[3:4], v[8:9], v[1:2]
	global_load_b128 v[7:10], v7, s[10:11] offset:1840
	ds_load_b128 v[1:4], v252 offset:8976
	s_waitcnt vmcnt(0) lgkmcnt(0)
	v_mul_f64 v[5:6], v[3:4], v[9:10]
	scratch_store_b128 off, v[7:10], off offset:1216 ; 16-byte Folded Spill
	v_fma_f64 v[88:89], v[1:2], v[7:8], -v[5:6]
	v_mul_f64 v[1:2], v[1:2], v[9:10]
	v_add_nc_u32_e32 v10, 0x1980, v0
	global_load_b128 v[11:14], v10, s[10:11] offset:1808
	v_fma_f64 v[90:91], v[3:4], v[7:8], v[1:2]
	global_load_b128 v[6:9], v10, s[10:11] offset:1792
	ds_load_b128 v[0:3], v252 offset:3536
	s_waitcnt vmcnt(1)
	scratch_store_b128 off, v[11:14], off offset:1248 ; 16-byte Folded Spill
	s_waitcnt vmcnt(0) lgkmcnt(0)
	v_mul_f64 v[4:5], v[2:3], v[8:9]
	scratch_store_b128 off, v[6:9], off offset:1232 ; 16-byte Folded Spill
	v_fma_f64 v[64:65], v[0:1], v[6:7], -v[4:5]
	v_mul_f64 v[0:1], v[0:1], v[8:9]
	s_delay_alu instid0(VALU_DEP_1) | instskip(SKIP_3) | instid1(VALU_DEP_1)
	v_fma_f64 v[0:1], v[2:3], v[6:7], v[0:1]
	ds_load_b128 v[2:5], v252 offset:5440
	s_waitcnt lgkmcnt(0)
	v_mul_f64 v[6:7], v[4:5], v[13:14]
	v_fma_f64 v[68:69], v[2:3], v[11:12], -v[6:7]
	v_mul_f64 v[2:3], v[2:3], v[13:14]
	s_delay_alu instid0(VALU_DEP_1)
	v_fma_f64 v[2:3], v[4:5], v[11:12], v[2:3]
	global_load_b128 v[11:14], v10, s[10:11] offset:1824
	ds_load_b128 v[4:7], v252 offset:7344
	s_waitcnt vmcnt(0) lgkmcnt(0)
	v_mul_f64 v[8:9], v[6:7], v[13:14]
	scratch_store_b128 off, v[11:14], off offset:1264 ; 16-byte Folded Spill
	v_fma_f64 v[70:71], v[4:5], v[11:12], -v[8:9]
	v_mul_f64 v[4:5], v[4:5], v[13:14]
	s_delay_alu instid0(VALU_DEP_2) | instskip(NEXT) | instid1(VALU_DEP_2)
	v_add_f64 v[158:159], v[68:69], -v[70:71]
	v_fma_f64 v[66:67], v[6:7], v[11:12], v[4:5]
	global_load_b128 v[10:13], v10, s[10:11] offset:1840
	ds_load_b128 v[4:7], v252 offset:9248
	s_mov_b32 s11, 0xbfe2cf23
	s_mov_b32 s10, s0
	s_waitcnt vmcnt(0) lgkmcnt(0)
	v_mul_f64 v[8:9], v[6:7], v[12:13]
	scratch_store_b128 off, v[10:13], off offset:1280 ; 16-byte Folded Spill
	v_fma_f64 v[82:83], v[4:5], v[10:11], -v[8:9]
	v_mul_f64 v[4:5], v[4:5], v[12:13]
	v_add_f64 v[8:9], v[130:131], -v[53:54]
	ds_load_b128 v[12:15], v252
	v_fma_f64 v[76:77], v[6:7], v[10:11], v[4:5]
	v_add_f64 v[4:5], v[29:30], -v[33:34]
	v_add_f64 v[6:7], v[128:129], -v[37:38]
	s_delay_alu instid0(VALU_DEP_1) | instskip(SKIP_1) | instid1(VALU_DEP_1)
	v_add_f64 v[4:5], v[4:5], v[6:7]
	v_add_f64 v[6:7], v[31:32], -v[35:36]
	v_add_f64 v[6:7], v[6:7], v[8:9]
	v_add_f64 v[8:9], v[33:34], v[37:38]
	s_waitcnt lgkmcnt(0)
	s_delay_alu instid0(VALU_DEP_1) | instskip(SKIP_1) | instid1(VALU_DEP_1)
	v_fma_f64 v[16:17], v[8:9], -0.5, v[12:13]
	v_add_f64 v[8:9], v[35:36], v[53:54]
	v_fma_f64 v[18:19], v[8:9], -0.5, v[14:15]
	s_delay_alu instid0(VALU_DEP_3) | instskip(SKIP_1) | instid1(VALU_DEP_3)
	v_fma_f64 v[8:9], v[20:21], s[14:15], v[16:17]
	v_fma_f64 v[16:17], v[20:21], s[12:13], v[16:17]
	;; [unrolled: 1-line block ×3, first 2 shown]
	s_delay_alu instid0(VALU_DEP_3) | instskip(SKIP_1) | instid1(VALU_DEP_4)
	v_fma_f64 v[8:9], v[22:23], s[0:1], v[8:9]
	v_fma_f64 v[18:19], v[24:25], s[14:15], v[18:19]
	v_fma_f64 v[16:17], v[22:23], s[10:11], v[16:17]
	s_delay_alu instid0(VALU_DEP_4) | instskip(NEXT) | instid1(VALU_DEP_4)
	v_fma_f64 v[10:11], v[26:27], s[10:11], v[10:11]
	v_fma_f64 v[8:9], v[4:5], s[16:17], v[8:9]
	s_delay_alu instid0(VALU_DEP_4) | instskip(NEXT) | instid1(VALU_DEP_4)
	v_fma_f64 v[18:19], v[26:27], s[0:1], v[18:19]
	v_fma_f64 v[4:5], v[4:5], s[16:17], v[16:17]
	v_add_f64 v[16:17], v[29:30], v[128:129]
	v_fma_f64 v[10:11], v[6:7], s[16:17], v[10:11]
	s_delay_alu instid0(VALU_DEP_4) | instskip(SKIP_1) | instid1(VALU_DEP_4)
	v_fma_f64 v[6:7], v[6:7], s[16:17], v[18:19]
	v_add_f64 v[18:19], v[31:32], v[130:131]
	v_fma_f64 v[16:17], v[16:17], -0.5, v[12:13]
	v_add_f64 v[12:13], v[12:13], v[29:30]
	v_add_f64 v[28:29], v[33:34], -v[29:30]
	s_delay_alu instid0(VALU_DEP_4) | instskip(SKIP_1) | instid1(VALU_DEP_4)
	v_fma_f64 v[18:19], v[18:19], -0.5, v[14:15]
	v_add_f64 v[14:15], v[14:15], v[31:32]
	v_add_f64 v[12:13], v[12:13], v[33:34]
	v_add_f64 v[30:31], v[35:36], -v[31:32]
	v_add_f64 v[32:33], v[37:38], -v[128:129]
	s_delay_alu instid0(VALU_DEP_4) | instskip(NEXT) | instid1(VALU_DEP_4)
	v_add_f64 v[14:15], v[14:15], v[35:36]
	v_add_f64 v[12:13], v[12:13], v[37:38]
	v_add_f64 v[34:35], v[53:54], -v[130:131]
	v_fma_f64 v[36:37], v[22:23], s[12:13], v[16:17]
	v_fma_f64 v[16:17], v[22:23], s[14:15], v[16:17]
	;; [unrolled: 1-line block ×4, first 2 shown]
	v_add_f64 v[26:27], v[28:29], v[32:33]
	v_add_f64 v[14:15], v[14:15], v[53:54]
	;; [unrolled: 1-line block ×4, first 2 shown]
	v_fma_f64 v[30:31], v[20:21], s[0:1], v[36:37]
	v_fma_f64 v[20:21], v[20:21], s[10:11], v[16:17]
	;; [unrolled: 1-line block ×4, first 2 shown]
	v_add_f64 v[34:35], v[50:51], v[134:135]
	v_add_f64 v[52:53], v[46:47], -v[138:139]
	v_add_f64 v[128:129], v[44:45], -v[136:137]
	;; [unrolled: 1-line block ×3, first 2 shown]
	v_add_f64 v[14:15], v[14:15], v[130:131]
	v_add_f64 v[130:131], v[48:49], -v[132:133]
	v_fma_f64 v[16:17], v[26:27], s[16:17], v[30:31]
	v_fma_f64 v[24:25], v[26:27], s[16:17], v[20:21]
	;; [unrolled: 1-line block ×3, first 2 shown]
	v_add_f64 v[20:21], v[44:45], -v[48:49]
	v_add_f64 v[22:23], v[136:137], -v[132:133]
	v_fma_f64 v[26:27], v[28:29], s[16:17], v[32:33]
	v_add_f64 v[32:33], v[48:49], v[132:133]
	s_delay_alu instid0(VALU_DEP_3) | instskip(SKIP_2) | instid1(VALU_DEP_1)
	v_add_f64 v[28:29], v[20:21], v[22:23]
	v_add_f64 v[20:21], v[46:47], -v[50:51]
	v_add_f64 v[22:23], v[138:139], -v[134:135]
	v_add_f64 v[30:31], v[20:21], v[22:23]
	ds_load_b128 v[20:23], v252 offset:272
	s_waitcnt lgkmcnt(0)
	v_fma_f64 v[32:33], v[32:33], -0.5, v[20:21]
	v_fma_f64 v[34:35], v[34:35], -0.5, v[22:23]
	s_delay_alu instid0(VALU_DEP_2) | instskip(NEXT) | instid1(VALU_DEP_2)
	v_fma_f64 v[36:37], v[52:53], s[14:15], v[32:33]
	v_fma_f64 v[38:39], v[128:129], s[12:13], v[34:35]
	;; [unrolled: 1-line block ×4, first 2 shown]
	s_delay_alu instid0(VALU_DEP_4) | instskip(NEXT) | instid1(VALU_DEP_4)
	v_fma_f64 v[36:37], v[54:55], s[0:1], v[36:37]
	v_fma_f64 v[38:39], v[130:131], s[10:11], v[38:39]
	s_delay_alu instid0(VALU_DEP_4) | instskip(NEXT) | instid1(VALU_DEP_4)
	v_fma_f64 v[32:33], v[54:55], s[10:11], v[32:33]
	v_fma_f64 v[34:35], v[130:131], s[0:1], v[34:35]
	;; [unrolled: 3-line block ×4, first 2 shown]
	v_add_f64 v[32:33], v[44:45], v[136:137]
	v_add_f64 v[34:35], v[46:47], v[138:139]
	s_delay_alu instid0(VALU_DEP_2) | instskip(NEXT) | instid1(VALU_DEP_2)
	v_fma_f64 v[32:33], v[32:33], -0.5, v[20:21]
	v_fma_f64 v[34:35], v[34:35], -0.5, v[22:23]
	v_add_f64 v[20:21], v[20:21], v[44:45]
	v_add_f64 v[22:23], v[22:23], v[46:47]
	s_delay_alu instid0(VALU_DEP_2) | instskip(NEXT) | instid1(VALU_DEP_2)
	v_add_f64 v[20:21], v[20:21], v[48:49]
	v_add_f64 v[22:23], v[22:23], v[50:51]
	v_add_f64 v[48:49], v[50:51], -v[46:47]
	v_add_f64 v[50:51], v[132:133], -v[136:137]
	s_delay_alu instid0(VALU_DEP_4) | instskip(NEXT) | instid1(VALU_DEP_4)
	v_add_f64 v[20:21], v[20:21], v[132:133]
	v_add_f64 v[22:23], v[22:23], v[134:135]
	s_delay_alu instid0(VALU_DEP_2) | instskip(NEXT) | instid1(VALU_DEP_2)
	v_add_f64 v[44:45], v[20:21], v[136:137]
	v_add_f64 v[46:47], v[22:23], v[138:139]
	v_add_f64 v[20:21], v[134:135], -v[138:139]
	v_fma_f64 v[22:23], v[54:55], s[12:13], v[32:33]
	v_fma_f64 v[32:33], v[54:55], s[14:15], v[32:33]
	;; [unrolled: 1-line block ×4, first 2 shown]
	v_add_f64 v[130:131], v[140:141], v[50:51]
	v_add_f64 v[136:137], v[40:41], -v[106:107]
	v_add_f64 v[140:141], v[42:43], -v[104:105]
	;; [unrolled: 1-line block ×3, first 2 shown]
	v_add_f64 v[20:21], v[48:49], v[20:21]
	v_fma_f64 v[22:23], v[52:53], s[0:1], v[22:23]
	v_fma_f64 v[32:33], v[52:53], s[10:11], v[32:33]
	;; [unrolled: 1-line block ×4, first 2 shown]
	s_delay_alu instid0(VALU_DEP_4) | instskip(SKIP_1) | instid1(VALU_DEP_4)
	v_fma_f64 v[48:49], v[130:131], s[16:17], v[22:23]
	v_add_f64 v[22:23], v[104:105], -v[60:61]
	v_fma_f64 v[50:51], v[20:21], s[16:17], v[50:51]
	s_delay_alu instid0(VALU_DEP_4)
	v_fma_f64 v[54:55], v[20:21], s[16:17], v[34:35]
	v_add_f64 v[20:21], v[42:43], -v[62:63]
	v_fma_f64 v[52:53], v[130:131], s[16:17], v[32:33]
	v_add_f64 v[32:33], v[106:107], -v[56:57]
	ds_load_b128 v[128:131], v252 offset:544
	v_add_f64 v[20:21], v[20:21], v[22:23]
	v_add_f64 v[22:23], v[40:41], -v[58:59]
	s_delay_alu instid0(VALU_DEP_1) | instskip(SKIP_2) | instid1(VALU_DEP_1)
	v_add_f64 v[22:23], v[22:23], v[32:33]
	v_add_f64 v[32:33], v[62:63], v[60:61]
	s_waitcnt lgkmcnt(0)
	v_fma_f64 v[132:133], v[32:33], -0.5, v[128:129]
	v_add_f64 v[32:33], v[58:59], v[56:57]
	s_delay_alu instid0(VALU_DEP_1) | instskip(NEXT) | instid1(VALU_DEP_3)
	v_fma_f64 v[134:135], v[32:33], -0.5, v[130:131]
	v_fma_f64 v[32:33], v[136:137], s[14:15], v[132:133]
	v_fma_f64 v[132:133], v[136:137], s[12:13], v[132:133]
	s_delay_alu instid0(VALU_DEP_3) | instskip(SKIP_1) | instid1(VALU_DEP_4)
	v_fma_f64 v[34:35], v[140:141], s[12:13], v[134:135]
	v_fma_f64 v[134:135], v[140:141], s[14:15], v[134:135]
	;; [unrolled: 1-line block ×3, first 2 shown]
	s_delay_alu instid0(VALU_DEP_4) | instskip(NEXT) | instid1(VALU_DEP_4)
	v_fma_f64 v[132:133], v[138:139], s[10:11], v[132:133]
	v_fma_f64 v[34:35], v[142:143], s[10:11], v[34:35]
	s_delay_alu instid0(VALU_DEP_4) | instskip(NEXT) | instid1(VALU_DEP_4)
	v_fma_f64 v[134:135], v[142:143], s[0:1], v[134:135]
	v_fma_f64 v[32:33], v[20:21], s[16:17], v[32:33]
	s_delay_alu instid0(VALU_DEP_4) | instskip(SKIP_4) | instid1(VALU_DEP_4)
	v_fma_f64 v[20:21], v[20:21], s[16:17], v[132:133]
	v_add_f64 v[132:133], v[42:43], v[104:105]
	v_fma_f64 v[34:35], v[22:23], s[16:17], v[34:35]
	v_fma_f64 v[22:23], v[22:23], s[16:17], v[134:135]
	v_add_f64 v[134:135], v[40:41], v[106:107]
	v_fma_f64 v[132:133], v[132:133], -0.5, v[128:129]
	v_add_f64 v[128:129], v[128:129], v[42:43]
	v_add_f64 v[42:43], v[62:63], -v[42:43]
	s_delay_alu instid0(VALU_DEP_4) | instskip(SKIP_3) | instid1(VALU_DEP_3)
	v_fma_f64 v[134:135], v[134:135], -0.5, v[130:131]
	v_add_f64 v[130:131], v[130:131], v[40:41]
	v_add_f64 v[40:41], v[58:59], -v[40:41]
	v_add_f64 v[62:63], v[128:129], v[62:63]
	v_add_f64 v[128:129], v[130:131], v[58:59]
	v_fma_f64 v[130:131], v[142:143], s[12:13], v[134:135]
	s_delay_alu instid0(VALU_DEP_3) | instskip(NEXT) | instid1(VALU_DEP_3)
	v_add_f64 v[58:59], v[62:63], v[60:61]
	v_add_f64 v[62:63], v[128:129], v[56:57]
	v_add_f64 v[128:129], v[60:61], -v[104:105]
	s_delay_alu instid0(VALU_DEP_3)
	v_add_f64 v[60:61], v[58:59], v[104:105]
	v_add_f64 v[56:57], v[56:57], -v[106:107]
	v_fma_f64 v[58:59], v[138:139], s[12:13], v[132:133]
	v_fma_f64 v[104:105], v[138:139], s[14:15], v[132:133]
	v_add_f64 v[62:63], v[62:63], v[106:107]
	v_fma_f64 v[106:107], v[142:143], s[14:15], v[134:135]
	v_add_f64 v[42:43], v[42:43], v[128:129]
	v_add_f64 v[128:129], v[40:41], v[56:57]
	v_fma_f64 v[40:41], v[136:137], s[0:1], v[58:59]
	v_fma_f64 v[104:105], v[136:137], s[10:11], v[104:105]
	v_add_f64 v[142:143], v[116:117], -v[118:119]
	v_fma_f64 v[58:59], v[140:141], s[10:11], v[106:107]
	v_fma_f64 v[106:107], v[140:141], s[0:1], v[130:131]
	v_add_f64 v[140:141], v[112:113], -v[126:127]
	;; [unrolled: 3-line block ×4, first 2 shown]
	v_add_f64 v[128:129], v[120:121], v[122:123]
	s_delay_alu instid0(VALU_DEP_2) | instskip(SKIP_2) | instid1(VALU_DEP_1)
	v_add_f64 v[132:133], v[104:105], v[106:107]
	v_add_f64 v[104:105], v[112:113], -v[116:117]
	v_add_f64 v[106:107], v[126:127], -v[118:119]
	v_add_f64 v[134:135], v[104:105], v[106:107]
	ds_load_b128 v[104:107], v252 offset:816
	s_waitcnt lgkmcnt(0)
	v_fma_f64 v[136:137], v[128:129], -0.5, v[104:105]
	v_add_f64 v[128:129], v[116:117], v[118:119]
	s_delay_alu instid0(VALU_DEP_1) | instskip(NEXT) | instid1(VALU_DEP_3)
	v_fma_f64 v[138:139], v[128:129], -0.5, v[106:107]
	v_fma_f64 v[128:129], v[140:141], s[14:15], v[136:137]
	v_fma_f64 v[136:137], v[140:141], s[12:13], v[136:137]
	s_delay_alu instid0(VALU_DEP_3) | instskip(SKIP_1) | instid1(VALU_DEP_4)
	v_fma_f64 v[130:131], v[144:145], s[12:13], v[138:139]
	v_fma_f64 v[138:139], v[144:145], s[14:15], v[138:139]
	;; [unrolled: 1-line block ×3, first 2 shown]
	s_delay_alu instid0(VALU_DEP_4) | instskip(NEXT) | instid1(VALU_DEP_4)
	v_fma_f64 v[136:137], v[142:143], s[10:11], v[136:137]
	v_fma_f64 v[130:131], v[146:147], s[10:11], v[130:131]
	s_delay_alu instid0(VALU_DEP_4) | instskip(NEXT) | instid1(VALU_DEP_4)
	v_fma_f64 v[138:139], v[146:147], s[0:1], v[138:139]
	v_fma_f64 v[128:129], v[132:133], s[16:17], v[128:129]
	s_delay_alu instid0(VALU_DEP_4) | instskip(SKIP_4) | instid1(VALU_DEP_4)
	v_fma_f64 v[132:133], v[132:133], s[16:17], v[136:137]
	v_add_f64 v[136:137], v[114:115], v[124:125]
	v_fma_f64 v[130:131], v[134:135], s[16:17], v[130:131]
	v_fma_f64 v[134:135], v[134:135], s[16:17], v[138:139]
	v_add_f64 v[138:139], v[112:113], v[126:127]
	v_fma_f64 v[136:137], v[136:137], -0.5, v[104:105]
	v_add_f64 v[104:105], v[104:105], v[114:115]
	v_add_f64 v[114:115], v[120:121], -v[114:115]
	s_delay_alu instid0(VALU_DEP_4) | instskip(SKIP_4) | instid1(VALU_DEP_4)
	v_fma_f64 v[138:139], v[138:139], -0.5, v[106:107]
	v_add_f64 v[106:107], v[106:107], v[112:113]
	v_add_f64 v[112:113], v[116:117], -v[112:113]
	v_add_f64 v[104:105], v[104:105], v[120:121]
	v_fma_f64 v[120:121], v[142:143], s[12:13], v[136:137]
	v_add_f64 v[106:107], v[106:107], v[116:117]
	v_add_f64 v[116:117], v[122:123], -v[124:125]
	s_delay_alu instid0(VALU_DEP_4) | instskip(SKIP_1) | instid1(VALU_DEP_4)
	v_add_f64 v[104:105], v[104:105], v[122:123]
	v_fma_f64 v[122:123], v[142:143], s[14:15], v[136:137]
	v_add_f64 v[106:107], v[106:107], v[118:119]
	v_add_f64 v[118:119], v[118:119], -v[126:127]
	s_delay_alu instid0(VALU_DEP_4)
	v_add_f64 v[104:105], v[104:105], v[124:125]
	v_fma_f64 v[124:125], v[146:147], s[14:15], v[138:139]
	v_add_f64 v[116:117], v[114:115], v[116:117]
	v_add_f64 v[106:107], v[106:107], v[126:127]
	v_fma_f64 v[126:127], v[146:147], s[12:13], v[138:139]
	v_add_f64 v[118:119], v[112:113], v[118:119]
	v_fma_f64 v[112:113], v[140:141], s[0:1], v[120:121]
	v_fma_f64 v[120:121], v[140:141], s[10:11], v[122:123]
	;; [unrolled: 1-line block ×3, first 2 shown]
	v_add_f64 v[124:125], v[98:99], v[102:103]
	v_add_f64 v[146:147], v[96:97], -v[100:101]
	v_fma_f64 v[122:123], v[144:145], s[0:1], v[126:127]
	v_add_f64 v[144:145], v[92:93], -v[110:111]
	v_fma_f64 v[112:113], v[116:117], s[16:17], v[112:113]
	v_fma_f64 v[116:117], v[116:117], s[16:17], v[120:121]
	;; [unrolled: 1-line block ×3, first 2 shown]
	v_add_f64 v[120:121], v[94:95], -v[98:99]
	v_fma_f64 v[118:119], v[118:119], s[16:17], v[122:123]
	v_add_f64 v[122:123], v[108:109], -v[102:103]
	s_delay_alu instid0(VALU_DEP_1) | instskip(SKIP_2) | instid1(VALU_DEP_1)
	v_add_f64 v[136:137], v[120:121], v[122:123]
	v_add_f64 v[120:121], v[92:93], -v[96:97]
	v_add_f64 v[122:123], v[110:111], -v[100:101]
	v_add_f64 v[138:139], v[120:121], v[122:123]
	ds_load_b128 v[120:123], v252 offset:1088
	s_waitcnt lgkmcnt(0)
	v_fma_f64 v[140:141], v[124:125], -0.5, v[120:121]
	v_add_f64 v[124:125], v[96:97], v[100:101]
	s_delay_alu instid0(VALU_DEP_1) | instskip(NEXT) | instid1(VALU_DEP_3)
	v_fma_f64 v[142:143], v[124:125], -0.5, v[122:123]
	v_fma_f64 v[124:125], v[144:145], s[14:15], v[140:141]
	v_fma_f64 v[140:141], v[144:145], s[12:13], v[140:141]
	s_delay_alu instid0(VALU_DEP_3) | instskip(SKIP_1) | instid1(VALU_DEP_4)
	v_fma_f64 v[126:127], v[148:149], s[12:13], v[142:143]
	v_fma_f64 v[142:143], v[148:149], s[14:15], v[142:143]
	;; [unrolled: 1-line block ×3, first 2 shown]
	s_delay_alu instid0(VALU_DEP_4) | instskip(NEXT) | instid1(VALU_DEP_4)
	v_fma_f64 v[140:141], v[146:147], s[10:11], v[140:141]
	v_fma_f64 v[126:127], v[150:151], s[10:11], v[126:127]
	s_delay_alu instid0(VALU_DEP_4) | instskip(NEXT) | instid1(VALU_DEP_4)
	v_fma_f64 v[142:143], v[150:151], s[0:1], v[142:143]
	v_fma_f64 v[124:125], v[136:137], s[16:17], v[124:125]
	s_delay_alu instid0(VALU_DEP_4) | instskip(SKIP_4) | instid1(VALU_DEP_4)
	v_fma_f64 v[136:137], v[136:137], s[16:17], v[140:141]
	v_add_f64 v[140:141], v[94:95], v[108:109]
	v_fma_f64 v[126:127], v[138:139], s[16:17], v[126:127]
	v_fma_f64 v[138:139], v[138:139], s[16:17], v[142:143]
	v_add_f64 v[142:143], v[92:93], v[110:111]
	v_fma_f64 v[140:141], v[140:141], -0.5, v[120:121]
	v_add_f64 v[120:121], v[120:121], v[94:95]
	s_delay_alu instid0(VALU_DEP_3) | instskip(SKIP_1) | instid1(VALU_DEP_3)
	v_fma_f64 v[142:143], v[142:143], -0.5, v[122:123]
	v_add_f64 v[122:123], v[122:123], v[92:93]
	v_add_f64 v[94:95], v[120:121], v[98:99]
	s_delay_alu instid0(VALU_DEP_3) | instskip(NEXT) | instid1(VALU_DEP_3)
	v_fma_f64 v[120:121], v[150:151], s[12:13], v[142:143]
	v_add_f64 v[98:99], v[122:123], v[96:97]
	v_add_f64 v[96:97], v[96:97], -v[92:93]
	s_delay_alu instid0(VALU_DEP_4) | instskip(NEXT) | instid1(VALU_DEP_3)
	v_add_f64 v[92:93], v[94:95], v[102:103]
	v_add_f64 v[94:95], v[98:99], v[100:101]
	v_add_f64 v[98:99], v[102:103], -v[108:109]
	s_delay_alu instid0(VALU_DEP_3)
	v_add_f64 v[92:93], v[92:93], v[108:109]
	v_add_f64 v[100:101], v[100:101], -v[110:111]
	v_fma_f64 v[102:103], v[146:147], s[12:13], v[140:141]
	v_fma_f64 v[108:109], v[146:147], s[14:15], v[140:141]
	v_add_f64 v[94:95], v[94:95], v[110:111]
	v_fma_f64 v[110:111], v[150:151], s[14:15], v[142:143]
	v_add_f64 v[122:123], v[152:153], v[98:99]
	v_add_f64 v[140:141], v[96:97], v[100:101]
	v_fma_f64 v[96:97], v[144:145], s[0:1], v[102:103]
	v_fma_f64 v[100:101], v[144:145], s[10:11], v[108:109]
	;; [unrolled: 1-line block ×3, first 2 shown]
	v_add_f64 v[108:109], v[74:75], -v[80:81]
	v_add_f64 v[120:121], v[80:81], v[86:87]
	v_add_f64 v[152:153], v[74:75], -v[88:89]
	v_add_f64 v[150:151], v[78:79], -v[84:85]
	v_fma_f64 v[98:99], v[148:149], s[10:11], v[110:111]
	v_add_f64 v[110:111], v[88:89], -v[86:87]
	v_add_f64 v[148:149], v[72:73], -v[90:91]
	v_fma_f64 v[96:97], v[122:123], s[16:17], v[96:97]
	v_fma_f64 v[100:101], v[122:123], s[16:17], v[100:101]
	;; [unrolled: 1-line block ×4, first 2 shown]
	v_add_f64 v[140:141], v[108:109], v[110:111]
	v_add_f64 v[108:109], v[72:73], -v[78:79]
	v_add_f64 v[110:111], v[90:91], -v[84:85]
	s_delay_alu instid0(VALU_DEP_1) | instskip(SKIP_4) | instid1(VALU_DEP_1)
	v_add_f64 v[142:143], v[108:109], v[110:111]
	ds_load_b128 v[108:111], v252 offset:1360
	s_waitcnt lgkmcnt(0)
	v_fma_f64 v[144:145], v[120:121], -0.5, v[108:109]
	v_add_f64 v[120:121], v[78:79], v[84:85]
	v_fma_f64 v[146:147], v[120:121], -0.5, v[110:111]
	s_delay_alu instid0(VALU_DEP_3) | instskip(SKIP_1) | instid1(VALU_DEP_3)
	v_fma_f64 v[120:121], v[148:149], s[14:15], v[144:145]
	v_fma_f64 v[144:145], v[148:149], s[12:13], v[144:145]
	;; [unrolled: 1-line block ×4, first 2 shown]
	s_delay_alu instid0(VALU_DEP_4) | instskip(NEXT) | instid1(VALU_DEP_4)
	v_fma_f64 v[120:121], v[150:151], s[0:1], v[120:121]
	v_fma_f64 v[144:145], v[150:151], s[10:11], v[144:145]
	s_delay_alu instid0(VALU_DEP_4) | instskip(NEXT) | instid1(VALU_DEP_4)
	v_fma_f64 v[122:123], v[154:155], s[10:11], v[122:123]
	v_fma_f64 v[146:147], v[154:155], s[0:1], v[146:147]
	;; [unrolled: 3-line block ×3, first 2 shown]
	v_add_f64 v[144:145], v[74:75], v[88:89]
	v_fma_f64 v[122:123], v[142:143], s[16:17], v[122:123]
	v_fma_f64 v[142:143], v[142:143], s[16:17], v[146:147]
	v_add_f64 v[146:147], v[72:73], v[90:91]
	s_delay_alu instid0(VALU_DEP_4) | instskip(SKIP_1) | instid1(VALU_DEP_3)
	v_fma_f64 v[144:145], v[144:145], -0.5, v[108:109]
	v_add_f64 v[108:109], v[108:109], v[74:75]
	v_fma_f64 v[146:147], v[146:147], -0.5, v[110:111]
	v_add_f64 v[110:111], v[110:111], v[72:73]
	s_delay_alu instid0(VALU_DEP_3) | instskip(NEXT) | instid1(VALU_DEP_3)
	v_add_f64 v[74:75], v[108:109], v[80:81]
	v_fma_f64 v[108:109], v[154:155], s[12:13], v[146:147]
	s_delay_alu instid0(VALU_DEP_3) | instskip(SKIP_1) | instid1(VALU_DEP_4)
	v_add_f64 v[80:81], v[110:111], v[78:79]
	v_add_f64 v[78:79], v[78:79], -v[72:73]
	v_add_f64 v[72:73], v[74:75], v[86:87]
	s_delay_alu instid0(VALU_DEP_3) | instskip(SKIP_1) | instid1(VALU_DEP_3)
	v_add_f64 v[74:75], v[80:81], v[84:85]
	v_add_f64 v[80:81], v[86:87], -v[88:89]
	v_add_f64 v[72:73], v[72:73], v[88:89]
	v_add_f64 v[84:85], v[84:85], -v[90:91]
	v_fma_f64 v[86:87], v[150:151], s[12:13], v[144:145]
	v_fma_f64 v[88:89], v[150:151], s[14:15], v[144:145]
	v_add_f64 v[74:75], v[74:75], v[90:91]
	v_fma_f64 v[90:91], v[154:155], s[14:15], v[146:147]
	v_add_f64 v[110:111], v[156:157], v[80:81]
	v_add_f64 v[144:145], v[78:79], v[84:85]
	v_fma_f64 v[78:79], v[148:149], s[0:1], v[86:87]
	v_fma_f64 v[84:85], v[148:149], s[10:11], v[88:89]
	;; [unrolled: 1-line block ×3, first 2 shown]
	v_add_f64 v[88:89], v[64:65], -v[68:69]
	v_add_f64 v[108:109], v[68:69], v[70:71]
	v_add_f64 v[156:157], v[64:65], -v[82:83]
	v_add_f64 v[154:155], v[2:3], -v[66:67]
	v_fma_f64 v[80:81], v[152:153], s[10:11], v[90:91]
	v_add_f64 v[90:91], v[82:83], -v[70:71]
	v_add_f64 v[152:153], v[0:1], -v[76:77]
	v_fma_f64 v[78:79], v[110:111], s[16:17], v[78:79]
	v_fma_f64 v[84:85], v[110:111], s[16:17], v[84:85]
	;; [unrolled: 1-line block ×4, first 2 shown]
	v_add_f64 v[144:145], v[88:89], v[90:91]
	v_add_f64 v[88:89], v[0:1], -v[2:3]
	v_add_f64 v[90:91], v[76:77], -v[66:67]
	s_delay_alu instid0(VALU_DEP_1) | instskip(SKIP_4) | instid1(VALU_DEP_1)
	v_add_f64 v[146:147], v[88:89], v[90:91]
	ds_load_b128 v[88:91], v252 offset:1632
	s_waitcnt lgkmcnt(0)
	v_fma_f64 v[148:149], v[108:109], -0.5, v[88:89]
	v_add_f64 v[108:109], v[2:3], v[66:67]
	v_fma_f64 v[150:151], v[108:109], -0.5, v[90:91]
	s_delay_alu instid0(VALU_DEP_3) | instskip(SKIP_1) | instid1(VALU_DEP_3)
	v_fma_f64 v[108:109], v[152:153], s[14:15], v[148:149]
	v_fma_f64 v[148:149], v[152:153], s[12:13], v[148:149]
	;; [unrolled: 1-line block ×4, first 2 shown]
	s_delay_alu instid0(VALU_DEP_4) | instskip(NEXT) | instid1(VALU_DEP_4)
	v_fma_f64 v[108:109], v[154:155], s[0:1], v[108:109]
	v_fma_f64 v[148:149], v[154:155], s[10:11], v[148:149]
	s_delay_alu instid0(VALU_DEP_4) | instskip(NEXT) | instid1(VALU_DEP_4)
	v_fma_f64 v[110:111], v[158:159], s[10:11], v[110:111]
	v_fma_f64 v[150:151], v[158:159], s[0:1], v[150:151]
	;; [unrolled: 3-line block ×3, first 2 shown]
	v_add_f64 v[148:149], v[64:65], v[82:83]
	v_fma_f64 v[110:111], v[146:147], s[16:17], v[110:111]
	v_fma_f64 v[146:147], v[146:147], s[16:17], v[150:151]
	v_add_f64 v[150:151], v[0:1], v[76:77]
	s_delay_alu instid0(VALU_DEP_4) | instskip(SKIP_2) | instid1(VALU_DEP_4)
	v_fma_f64 v[148:149], v[148:149], -0.5, v[88:89]
	v_add_f64 v[88:89], v[88:89], v[64:65]
	v_add_f64 v[64:65], v[68:69], -v[64:65]
	v_fma_f64 v[150:151], v[150:151], -0.5, v[90:91]
	v_add_f64 v[90:91], v[90:91], v[0:1]
	v_fma_f64 v[160:161], v[154:155], s[12:13], v[148:149]
	v_add_f64 v[88:89], v[88:89], v[68:69]
	v_fma_f64 v[148:149], v[154:155], s[14:15], v[148:149]
	v_add_f64 v[154:155], v[70:71], -v[82:83]
	v_add_f64 v[0:1], v[2:3], -v[0:1]
	v_add_f64 v[68:69], v[90:91], v[2:3]
	v_add_f64 v[2:3], v[66:67], -v[76:77]
	v_add_f64 v[88:89], v[88:89], v[70:71]
	v_add_f64 v[64:65], v[64:65], v[154:155]
	s_delay_alu instid0(VALU_DEP_4) | instskip(SKIP_1) | instid1(VALU_DEP_4)
	v_add_f64 v[90:91], v[68:69], v[66:67]
	v_fma_f64 v[66:67], v[158:159], s[14:15], v[150:151]
	v_add_f64 v[68:69], v[88:89], v[82:83]
	v_fma_f64 v[82:83], v[152:153], s[0:1], v[160:161]
	v_fma_f64 v[88:89], v[152:153], s[10:11], v[148:149]
	s_mov_b32 s14, 0x5476071b
	s_mov_b32 s15, 0x3fe77f67
	;; [unrolled: 1-line block ×3, first 2 shown]
	v_add_f64 v[70:71], v[90:91], v[76:77]
	v_fma_f64 v[76:77], v[158:159], s[12:13], v[150:151]
	v_add_f64 v[90:91], v[0:1], v[2:3]
	v_fma_f64 v[2:3], v[156:157], s[10:11], v[66:67]
	v_fma_f64 v[0:1], v[64:65], s[16:17], v[82:83]
	;; [unrolled: 1-line block ×3, first 2 shown]
	s_mov_b32 s12, 0xe976ee23
	s_mov_b32 s10, 0x429ad128
	s_mov_b32 s13, 0x3fe11646
	s_mov_b32 s11, 0xbfebfeb5
	v_fma_f64 v[66:67], v[156:157], s[0:1], v[76:77]
	v_lshl_add_u32 v76, v162, 4, v208
	v_fma_f64 v[2:3], v[90:91], s[16:17], v[2:3]
	ds_store_b128 v76, v[8:11] offset:1904
	ds_store_b128 v76, v[16:19] offset:3808
	;; [unrolled: 1-line block ×4, first 2 shown]
	ds_store_b128 v252, v[12:15]
	ds_store_b128 v252, v[44:47] offset:272
	ds_store_b128 v76, v[36:39] offset:2176
	;; [unrolled: 1-line block ×4, first 2 shown]
	scratch_store_b32 off, v76, off offset:1296 ; 4-byte Folded Spill
	v_fma_f64 v[66:67], v[90:91], s[16:17], v[66:67]
	ds_store_b128 v76, v[28:31] offset:7888
	ds_store_b128 v252, v[60:63] offset:544
	;; [unrolled: 1-line block ×26, first 2 shown]
	v_lshlrev_b32_e32 v0, 4, v162
	s_waitcnt lgkmcnt(0)
	s_waitcnt_vscnt null, 0x0
	s_barrier
	buffer_gl0_inv
	ds_load_b128 v[4:7], v252
	ds_load_b128 v[45:48], v252 offset:272
	global_load_b128 v[108:111], v0, s[8:9]
	ds_load_b128 v[21:24], v252 offset:4080
	ds_load_b128 v[183:186], v252 offset:3808
	v_add_co_u32 v79, s0, s8, v0
	s_delay_alu instid0(VALU_DEP_1)
	v_add_co_ci_u32_e64 v80, null, s9, 0, s0
	ds_load_b128 v[27:30], v252 offset:5440
	ds_load_b128 v[69:72], v252 offset:5712
	;; [unrolled: 1-line block ×24, first 2 shown]
	s_mov_b32 s16, 0xb247c609
	s_mov_b32 s17, 0xbfd5d0dc
	;; [unrolled: 1-line block ×3, first 2 shown]
	ds_load_b128 v[153:156], v252 offset:6256
	ds_load_b128 v[171:174], v252 offset:1088
	;; [unrolled: 1-line block ×3, first 2 shown]
	s_waitcnt vmcnt(0) lgkmcnt(30)
	v_mul_f64 v[1:2], v[6:7], v[110:111]
	v_mul_f64 v[8:9], v[4:5], v[110:111]
	ds_load_b128 v[111:114], v252 offset:5984
	v_fma_f64 v[1:2], v[4:5], v[108:109], -v[1:2]
	v_fma_f64 v[3:4], v[6:7], v[108:109], v[8:9]
	global_load_b128 v[5:8], v0, s[8:9] offset:1360
	ds_load_b128 v[9:12], v252 offset:1360
	ds_load_b128 v[105:108], v252 offset:4624
	s_waitcnt vmcnt(0) lgkmcnt(1)
	v_mul_f64 v[13:14], v[11:12], v[7:8]
	v_mul_f64 v[15:16], v[9:10], v[7:8]
	s_delay_alu instid0(VALU_DEP_2) | instskip(NEXT) | instid1(VALU_DEP_2)
	v_fma_f64 v[7:8], v[9:10], v[5:6], -v[13:14]
	v_fma_f64 v[9:10], v[11:12], v[5:6], v[15:16]
	global_load_b128 v[11:14], v0, s[8:9] offset:2720
	ds_load_b128 v[15:18], v252 offset:2720
	s_waitcnt vmcnt(0) lgkmcnt(0)
	v_mul_f64 v[5:6], v[17:18], v[13:14]
	v_mul_f64 v[19:20], v[15:16], v[13:14]
	s_delay_alu instid0(VALU_DEP_2) | instskip(NEXT) | instid1(VALU_DEP_2)
	v_fma_f64 v[13:14], v[15:16], v[11:12], -v[5:6]
	v_fma_f64 v[15:16], v[17:18], v[11:12], v[19:20]
	global_load_b128 v[17:20], v0, s[8:9] offset:4080
	s_waitcnt vmcnt(0)
	v_mul_f64 v[5:6], v[23:24], v[19:20]
	v_mul_f64 v[11:12], v[21:22], v[19:20]
	s_delay_alu instid0(VALU_DEP_2) | instskip(SKIP_1) | instid1(VALU_DEP_1)
	v_fma_f64 v[19:20], v[21:22], v[17:18], -v[5:6]
	v_add_co_u32 v5, s0, 0x1000, v79
	v_add_co_ci_u32_e64 v6, s0, 0, v80, s0
	s_delay_alu instid0(VALU_DEP_4) | instskip(SKIP_4) | instid1(VALU_DEP_2)
	v_fma_f64 v[21:22], v[23:24], v[17:18], v[11:12]
	global_load_b128 v[23:26], v[5:6], off offset:1344
	s_waitcnt vmcnt(0)
	v_mul_f64 v[11:12], v[29:30], v[25:26]
	v_mul_f64 v[17:18], v[27:28], v[25:26]
	v_fma_f64 v[25:26], v[27:28], v[23:24], -v[11:12]
	s_delay_alu instid0(VALU_DEP_2) | instskip(SKIP_4) | instid1(VALU_DEP_2)
	v_fma_f64 v[27:28], v[29:30], v[23:24], v[17:18]
	global_load_b128 v[29:32], v[5:6], off offset:2704
	s_waitcnt vmcnt(0)
	v_mul_f64 v[11:12], v[35:36], v[31:32]
	v_mul_f64 v[17:18], v[33:34], v[31:32]
	v_fma_f64 v[31:32], v[33:34], v[29:30], -v[11:12]
	s_delay_alu instid0(VALU_DEP_2) | instskip(SKIP_4) | instid1(VALU_DEP_2)
	;; [unrolled: 7-line block ×3, first 2 shown]
	v_fma_f64 v[39:40], v[41:42], v[35:36], v[17:18]
	global_load_b128 v[41:44], v0, s[8:9] offset:272
	s_waitcnt vmcnt(0)
	v_mul_f64 v[11:12], v[47:48], v[43:44]
	v_mul_f64 v[17:18], v[45:46], v[43:44]
	v_fma_f64 v[43:44], v[45:46], v[41:42], -v[11:12]
	s_delay_alu instid0(VALU_DEP_2) | instskip(SKIP_4) | instid1(VALU_DEP_2)
	v_fma_f64 v[45:46], v[47:48], v[41:42], v[17:18]
	global_load_b128 v[47:50], v0, s[8:9] offset:1632
	s_waitcnt vmcnt(0)
	v_mul_f64 v[11:12], v[53:54], v[49:50]
	v_mul_f64 v[17:18], v[51:52], v[49:50]
	v_fma_f64 v[49:50], v[51:52], v[47:48], -v[11:12]
	s_delay_alu instid0(VALU_DEP_2) | instskip(SKIP_4) | instid1(VALU_DEP_2)
	;; [unrolled: 7-line block ×3, first 2 shown]
	v_fma_f64 v[57:58], v[59:60], v[53:54], v[17:18]
	global_load_b128 v[59:62], v[5:6], off offset:256
	s_waitcnt vmcnt(0)
	v_mul_f64 v[11:12], v[65:66], v[61:62]
	v_mul_f64 v[17:18], v[63:64], v[61:62]
	v_fma_f64 v[61:62], v[63:64], v[59:60], -v[11:12]
	s_delay_alu instid0(VALU_DEP_2) | instskip(SKIP_4) | instid1(VALU_DEP_2)
	v_fma_f64 v[63:64], v[65:66], v[59:60], v[17:18]
	global_load_b128 v[65:68], v[5:6], off offset:1616
	s_waitcnt vmcnt(0)
	v_mul_f64 v[11:12], v[71:72], v[67:68]
	v_mul_f64 v[17:18], v[69:70], v[67:68]
	v_fma_f64 v[67:68], v[69:70], v[65:66], -v[11:12]
	s_delay_alu instid0(VALU_DEP_2) | instskip(SKIP_4) | instid1(VALU_DEP_2)
	v_fma_f64 v[69:70], v[71:72], v[65:66], v[17:18]
	global_load_b128 v[71:74], v[5:6], off offset:2976
	s_waitcnt vmcnt(0)
	v_mul_f64 v[11:12], v[77:78], v[73:74]
	v_mul_f64 v[17:18], v[75:76], v[73:74]
	v_fma_f64 v[73:74], v[75:76], v[71:72], -v[11:12]
	v_add_co_u32 v11, s0, 0x2000, v79
	s_delay_alu instid0(VALU_DEP_1) | instskip(NEXT) | instid1(VALU_DEP_4)
	v_add_co_ci_u32_e64 v12, s0, 0, v80, s0
	v_fma_f64 v[75:76], v[77:78], v[71:72], v[17:18]
	s_mov_b32 s0, 0x37c3f68c
	s_mov_b32 s1, 0xbfdc38aa
	global_load_b128 v[77:80], v[11:12], off offset:240
	s_waitcnt vmcnt(0)
	v_mul_f64 v[17:18], v[83:84], v[79:80]
	v_mul_f64 v[23:24], v[81:82], v[79:80]
	s_delay_alu instid0(VALU_DEP_2) | instskip(NEXT) | instid1(VALU_DEP_2)
	v_fma_f64 v[79:80], v[81:82], v[77:78], -v[17:18]
	v_fma_f64 v[81:82], v[83:84], v[77:78], v[23:24]
	global_load_b128 v[83:86], v0, s[8:9] offset:544
	s_waitcnt vmcnt(0)
	v_mul_f64 v[17:18], v[89:90], v[85:86]
	v_mul_f64 v[23:24], v[87:88], v[85:86]
	s_delay_alu instid0(VALU_DEP_2) | instskip(NEXT) | instid1(VALU_DEP_2)
	v_fma_f64 v[85:86], v[87:88], v[83:84], -v[17:18]
	v_fma_f64 v[87:88], v[89:90], v[83:84], v[23:24]
	global_load_b128 v[89:92], v0, s[8:9] offset:1904
	;; [unrolled: 7-line block ×3, first 2 shown]
	s_waitcnt vmcnt(0)
	v_mul_f64 v[17:18], v[101:102], v[97:98]
	v_mul_f64 v[23:24], v[99:100], v[97:98]
	s_delay_alu instid0(VALU_DEP_2) | instskip(NEXT) | instid1(VALU_DEP_2)
	v_fma_f64 v[97:98], v[99:100], v[95:96], -v[17:18]
	v_fma_f64 v[99:100], v[101:102], v[95:96], v[23:24]
	global_load_b128 v[101:104], v[5:6], off offset:528
	s_waitcnt vmcnt(0)
	v_mul_f64 v[17:18], v[107:108], v[103:104]
	v_mul_f64 v[23:24], v[105:106], v[103:104]
	s_delay_alu instid0(VALU_DEP_2) | instskip(NEXT) | instid1(VALU_DEP_2)
	v_fma_f64 v[103:104], v[105:106], v[101:102], -v[17:18]
	v_fma_f64 v[105:106], v[107:108], v[101:102], v[23:24]
	global_load_b128 v[107:110], v[5:6], off offset:1888
	;; [unrolled: 7-line block ×3, first 2 shown]
	s_waitcnt vmcnt(0)
	v_mul_f64 v[17:18], v[119:120], v[115:116]
	v_mul_f64 v[23:24], v[117:118], v[115:116]
	s_delay_alu instid0(VALU_DEP_2)
	v_fma_f64 v[115:116], v[117:118], v[113:114], -v[17:18]
	scratch_load_b32 v17, off, off offset:1328 ; 4-byte Folded Reload
	v_fma_f64 v[117:118], v[119:120], v[113:114], v[23:24]
	s_waitcnt vmcnt(0)
	global_load_b128 v[119:122], v17, s[8:9]
	s_waitcnt vmcnt(0)
	v_mul_f64 v[17:18], v[125:126], v[121:122]
	v_mul_f64 v[23:24], v[123:124], v[121:122]
	s_delay_alu instid0(VALU_DEP_2) | instskip(NEXT) | instid1(VALU_DEP_2)
	v_fma_f64 v[121:122], v[123:124], v[119:120], -v[17:18]
	v_fma_f64 v[123:124], v[125:126], v[119:120], v[23:24]
	global_load_b128 v[125:128], v0, s[8:9] offset:816
	s_waitcnt vmcnt(0)
	v_mul_f64 v[17:18], v[131:132], v[127:128]
	v_mul_f64 v[23:24], v[129:130], v[127:128]
	s_delay_alu instid0(VALU_DEP_2) | instskip(NEXT) | instid1(VALU_DEP_2)
	v_fma_f64 v[127:128], v[129:130], v[125:126], -v[17:18]
	v_fma_f64 v[129:130], v[131:132], v[125:126], v[23:24]
	global_load_b128 v[131:134], v0, s[8:9] offset:2176
	;; [unrolled: 7-line block ×3, first 2 shown]
	s_waitcnt vmcnt(0)
	v_mul_f64 v[17:18], v[143:144], v[139:140]
	v_mul_f64 v[23:24], v[141:142], v[139:140]
	s_delay_alu instid0(VALU_DEP_2) | instskip(NEXT) | instid1(VALU_DEP_2)
	v_fma_f64 v[139:140], v[141:142], v[137:138], -v[17:18]
	v_fma_f64 v[141:142], v[143:144], v[137:138], v[23:24]
	global_load_b128 v[143:146], v[5:6], off offset:800
	s_waitcnt vmcnt(0)
	v_mul_f64 v[17:18], v[149:150], v[145:146]
	v_mul_f64 v[23:24], v[147:148], v[145:146]
	s_delay_alu instid0(VALU_DEP_2) | instskip(NEXT) | instid1(VALU_DEP_2)
	v_fma_f64 v[145:146], v[147:148], v[143:144], -v[17:18]
	v_fma_f64 v[147:148], v[149:150], v[143:144], v[23:24]
	global_load_b128 v[149:152], v[5:6], off offset:2160
	;; [unrolled: 7-line block ×4, first 2 shown]
	s_waitcnt vmcnt(0)
	v_mul_f64 v[17:18], v[167:168], v[163:164]
	v_mul_f64 v[23:24], v[165:166], v[163:164]
	s_delay_alu instid0(VALU_DEP_2) | instskip(NEXT) | instid1(VALU_DEP_2)
	v_fma_f64 v[163:164], v[165:166], v[161:162], -v[17:18]
	v_fma_f64 v[165:166], v[167:168], v[161:162], v[23:24]
	global_load_b128 v[167:170], v0, s[8:9] offset:1088
	s_waitcnt vmcnt(0)
	v_mul_f64 v[17:18], v[173:174], v[169:170]
	v_mul_f64 v[23:24], v[171:172], v[169:170]
	s_delay_alu instid0(VALU_DEP_2) | instskip(NEXT) | instid1(VALU_DEP_2)
	v_fma_f64 v[169:170], v[171:172], v[167:168], -v[17:18]
	v_fma_f64 v[171:172], v[173:174], v[167:168], v[23:24]
	global_load_b128 v[173:176], v0, s[8:9] offset:2448
	;; [unrolled: 7-line block ×3, first 2 shown]
	s_mov_b32 s8, 0x36b3c0b5
	s_mov_b32 s9, 0x3fac98ee
	s_waitcnt vmcnt(0)
	v_mul_f64 v[17:18], v[185:186], v[181:182]
	v_mul_f64 v[23:24], v[183:184], v[181:182]
	s_delay_alu instid0(VALU_DEP_2) | instskip(NEXT) | instid1(VALU_DEP_2)
	v_fma_f64 v[181:182], v[183:184], v[179:180], -v[17:18]
	v_fma_f64 v[183:184], v[185:186], v[179:180], v[23:24]
	global_load_b128 v[185:188], v[5:6], off offset:1072
	s_waitcnt vmcnt(0)
	v_mul_f64 v[17:18], v[191:192], v[187:188]
	v_mul_f64 v[23:24], v[189:190], v[187:188]
	s_delay_alu instid0(VALU_DEP_2) | instskip(NEXT) | instid1(VALU_DEP_2)
	v_fma_f64 v[187:188], v[189:190], v[185:186], -v[17:18]
	v_fma_f64 v[189:190], v[191:192], v[185:186], v[23:24]
	global_load_b128 v[191:194], v[5:6], off offset:2432
	;; [unrolled: 7-line block ×4, first 2 shown]
	s_waitcnt vmcnt(0)
	v_mul_f64 v[5:6], v[209:210], v[205:206]
	v_mul_f64 v[11:12], v[207:208], v[205:206]
	s_delay_alu instid0(VALU_DEP_2) | instskip(NEXT) | instid1(VALU_DEP_2)
	v_fma_f64 v[205:206], v[207:208], v[203:204], -v[5:6]
	v_fma_f64 v[207:208], v[209:210], v[203:204], v[11:12]
	ds_store_b128 v252, v[1:4]
	ds_store_b128 v252, v[43:46] offset:272
	ds_store_b128 v252, v[13:16] offset:2720
	;; [unrolled: 1-line block ×34, first 2 shown]
	s_waitcnt lgkmcnt(0)
	s_barrier
	buffer_gl0_inv
	ds_load_b128 v[0:3], v252 offset:1360
	ds_load_b128 v[8:11], v252 offset:8160
	s_waitcnt lgkmcnt(0)
	v_add_f64 v[4:5], v[0:1], v[8:9]
	v_add_f64 v[6:7], v[2:3], v[10:11]
	v_add_f64 v[8:9], v[0:1], -v[8:9]
	v_add_f64 v[10:11], v[2:3], -v[10:11]
	ds_load_b128 v[0:3], v252 offset:6800
	ds_load_b128 v[12:15], v252 offset:2720
	s_waitcnt lgkmcnt(0)
	v_add_f64 v[118:119], v[12:13], v[0:1]
	v_add_f64 v[116:117], v[14:15], v[2:3]
	v_add_f64 v[106:107], v[12:13], -v[0:1]
	v_add_f64 v[104:105], v[14:15], -v[2:3]
	;; [unrolled: 7-line block ×3, first 2 shown]
	ds_load_b128 v[12:15], v252 offset:8432
	ds_load_b128 v[16:19], v252 offset:1632
	v_add_f64 v[128:129], v[118:119], -v[4:5]
	v_add_f64 v[132:133], v[116:117], -v[6:7]
	;; [unrolled: 1-line block ×4, first 2 shown]
	s_waitcnt lgkmcnt(0)
	v_add_f64 v[0:1], v[16:17], v[12:13]
	v_add_f64 v[2:3], v[18:19], v[14:15]
	v_add_f64 v[12:13], v[16:17], -v[12:13]
	v_add_f64 v[14:15], v[18:19], -v[14:15]
	ds_load_b128 v[16:19], v252 offset:2992
	ds_load_b128 v[20:23], v252 offset:7072
	v_add_f64 v[130:131], v[108:109], -v[118:119]
	v_add_f64 v[134:135], v[110:111], -v[116:117]
	;; [unrolled: 1-line block ×3, first 2 shown]
	s_waitcnt lgkmcnt(0)
	v_add_f64 v[70:71], v[16:17], v[20:21]
	v_add_f64 v[60:61], v[18:19], v[22:23]
	v_add_f64 v[50:51], v[16:17], -v[20:21]
	v_add_f64 v[48:49], v[18:19], -v[22:23]
	ds_load_b128 v[16:19], v252 offset:5712
	ds_load_b128 v[20:23], v252 offset:4352
	s_waitcnt lgkmcnt(0)
	v_add_f64 v[24:25], v[20:21], v[16:17]
	v_add_f64 v[26:27], v[22:23], v[18:19]
	v_add_f64 v[28:29], v[16:17], -v[20:21]
	v_add_f64 v[30:31], v[18:19], -v[22:23]
	ds_load_b128 v[20:23], v252 offset:1904
	ds_load_b128 v[32:35], v252 offset:8704
	v_mul_f64 v[138:139], v[138:139], s[12:13]
	s_waitcnt lgkmcnt(0)
	v_add_f64 v[16:17], v[20:21], v[32:33]
	v_add_f64 v[18:19], v[22:23], v[34:35]
	v_add_f64 v[20:21], v[20:21], -v[32:33]
	v_add_f64 v[22:23], v[22:23], -v[34:35]
	ds_load_b128 v[32:35], v252 offset:7344
	ds_load_b128 v[36:39], v252 offset:3264
	s_waitcnt lgkmcnt(0)
	v_add_f64 v[86:87], v[36:37], v[32:33]
	v_add_f64 v[76:77], v[38:39], v[34:35]
	v_add_f64 v[74:75], v[36:37], -v[32:33]
	v_add_f64 v[72:73], v[38:39], -v[34:35]
	ds_load_b128 v[32:35], v252 offset:4624
	ds_load_b128 v[36:39], v252 offset:5984
	;; [unrolled: 7-line block ×8, first 2 shown]
	s_waitcnt lgkmcnt(0)
	v_add_f64 v[78:79], v[82:83], v[120:121]
	v_add_f64 v[82:83], v[120:121], -v[82:83]
	v_add_f64 v[120:121], v[118:119], v[4:5]
	v_add_f64 v[118:119], v[112:113], -v[106:107]
	v_add_f64 v[4:5], v[4:5], -v[108:109]
	v_add_f64 v[80:81], v[84:85], v[122:123]
	v_add_f64 v[84:85], v[122:123], -v[84:85]
	v_add_f64 v[124:125], v[108:109], v[120:121]
	v_add_f64 v[120:121], v[116:117], v[6:7]
	;; [unrolled: 1-line block ×4, first 2 shown]
	v_add_f64 v[6:7], v[6:7], -v[110:111]
	v_mul_f64 v[146:147], v[118:119], s[12:13]
	v_mul_f64 v[108:109], v[136:137], s[10:11]
	;; [unrolled: 1-line block ×4, first 2 shown]
	v_add_f64 v[126:127], v[110:111], v[120:121]
	ds_load_b128 v[120:123], v252
	v_add_f64 v[142:143], v[116:117], v[8:9]
	v_add_f64 v[144:145], v[106:107], v[10:11]
	v_add_f64 v[8:9], v[8:9], -v[112:113]
	v_add_f64 v[10:11], v[10:11], -v[114:115]
	v_mul_f64 v[110:111], v[140:141], s[10:11]
	v_mul_f64 v[6:7], v[6:7], s[20:21]
	;; [unrolled: 1-line block ×3, first 2 shown]
	v_fma_f64 v[112:113], v[128:129], s[22:23], -v[4:5]
	v_fma_f64 v[4:5], v[130:131], s[8:9], v[4:5]
	v_fma_f64 v[104:105], v[128:129], s[14:15], -v[104:105]
	v_fma_f64 v[116:117], v[136:137], s[10:11], -v[146:147]
	s_waitcnt lgkmcnt(0)
	v_add_f64 v[120:121], v[120:121], v[124:125]
	v_add_f64 v[122:123], v[122:123], v[126:127]
	v_fma_f64 v[108:109], v[8:9], s[24:25], -v[108:109]
	v_fma_f64 v[8:9], v[8:9], s[16:17], v[146:147]
	v_fma_f64 v[110:111], v[10:11], s[24:25], -v[110:111]
	v_fma_f64 v[114:115], v[132:133], s[22:23], -v[6:7]
	v_fma_f64 v[10:11], v[10:11], s[16:17], v[138:139]
	v_fma_f64 v[6:7], v[134:135], s[8:9], v[6:7]
	v_fma_f64 v[106:107], v[132:133], s[14:15], -v[106:107]
	v_fma_f64 v[118:119], v[142:143], s[0:1], v[116:117]
	v_fma_f64 v[116:117], v[140:141], s[10:11], -v[138:139]
	v_fma_f64 v[124:125], v[124:125], s[18:19], v[120:121]
	v_fma_f64 v[126:127], v[126:127], s[18:19], v[122:123]
	;; [unrolled: 1-line block ×7, first 2 shown]
	v_add_f64 v[112:113], v[112:113], v[124:125]
	v_add_f64 v[4:5], v[4:5], v[124:125]
	;; [unrolled: 1-line block ×7, first 2 shown]
	v_add_f64 v[112:113], v[112:113], -v[132:133]
	v_add_f64 v[124:125], v[4:5], v[10:11]
	v_add_f64 v[104:105], v[148:149], -v[116:117]
	v_add_f64 v[116:117], v[148:149], v[116:117]
	;; [unrolled: 2-line block ×3, first 2 shown]
	v_add_f64 v[126:127], v[6:7], -v[8:9]
	v_add_f64 v[128:129], v[4:5], -v[10:11]
	v_add_f64 v[130:131], v[8:9], v[6:7]
	ds_load_b128 v[4:7], v252 offset:1088
	ds_load_b128 v[132:135], v252 offset:272
	;; [unrolled: 1-line block ×4, first 2 shown]
	s_waitcnt lgkmcnt(0)
	s_barrier
	buffer_gl0_inv
	scratch_load_b32 v140, off, off offset:1360 ; 4-byte Folded Reload
	v_add_f64 v[106:107], v[118:119], v[150:151]
	v_add_f64 v[118:119], v[150:151], -v[118:119]
	s_waitcnt vmcnt(0)
	ds_store_b128 v140, v[120:123]
	ds_store_b128 v140, v[124:127] offset:16
	ds_store_b128 v140, v[108:111] offset:32
	;; [unrolled: 1-line block ×6, first 2 shown]
	v_add_f64 v[104:105], v[70:71], v[0:1]
	v_add_f64 v[114:115], v[60:61], -v[2:3]
	v_add_f64 v[116:117], v[28:29], v[50:51]
	v_add_f64 v[118:119], v[28:29], -v[50:51]
	v_add_f64 v[120:121], v[50:51], -v[12:13]
	v_add_f64 v[50:51], v[30:31], v[48:49]
	v_add_f64 v[124:125], v[48:49], -v[14:15]
	v_add_f64 v[112:113], v[70:71], -v[0:1]
	;; [unrolled: 1-line block ×5, first 2 shown]
	v_add_f64 v[108:109], v[24:25], v[104:105]
	v_add_f64 v[104:105], v[60:61], v[2:3]
	v_add_f64 v[2:3], v[2:3], -v[26:27]
	v_add_f64 v[60:61], v[26:27], -v[60:61]
	v_add_f64 v[116:117], v[116:117], v[12:13]
	v_add_f64 v[126:127], v[50:51], v[14:15]
	v_mul_f64 v[118:119], v[118:119], s[12:13]
	v_add_f64 v[24:25], v[12:13], -v[28:29]
	v_mul_f64 v[12:13], v[120:121], s[10:11]
	v_mul_f64 v[122:123], v[122:123], s[12:13]
	;; [unrolled: 1-line block ×4, first 2 shown]
	v_add_f64 v[110:111], v[26:27], v[104:105]
	v_add_f64 v[26:27], v[14:15], -v[30:31]
	v_mul_f64 v[14:15], v[124:125], s[10:11]
	v_mul_f64 v[30:31], v[2:3], s[20:21]
	;; [unrolled: 1-line block ×3, first 2 shown]
	v_add_f64 v[104:105], v[132:133], v[108:109]
	v_fma_f64 v[0:1], v[24:25], s[24:25], -v[12:13]
	v_fma_f64 v[24:25], v[24:25], s[16:17], v[118:119]
	v_fma_f64 v[12:13], v[112:113], s[22:23], -v[28:29]
	v_fma_f64 v[28:29], v[70:71], s[8:9], v[28:29]
	v_fma_f64 v[48:49], v[112:113], s[14:15], -v[48:49]
	v_add_f64 v[106:107], v[134:135], v[110:111]
	v_fma_f64 v[2:3], v[26:27], s[24:25], -v[14:15]
	v_fma_f64 v[14:15], v[114:115], s[22:23], -v[30:31]
	v_fma_f64 v[30:31], v[60:61], s[8:9], v[30:31]
	v_fma_f64 v[26:27], v[26:27], s[16:17], v[122:123]
	;; [unrolled: 1-line block ×3, first 2 shown]
	v_fma_f64 v[108:109], v[120:121], s[10:11], -v[118:119]
	v_fma_f64 v[60:61], v[116:117], s[0:1], v[24:25]
	v_fma_f64 v[50:51], v[114:115], s[14:15], -v[50:51]
	v_fma_f64 v[112:113], v[116:117], s[0:1], v[0:1]
	v_fma_f64 v[130:131], v[110:111], s[18:19], v[106:107]
	;; [unrolled: 1-line block ×4, first 2 shown]
	v_add_f64 v[28:29], v[28:29], v[128:129]
	v_fma_f64 v[110:111], v[116:117], s[0:1], v[108:109]
	v_fma_f64 v[108:109], v[124:125], s[10:11], -v[122:123]
	v_add_f64 v[12:13], v[12:13], v[128:129]
	v_add_f64 v[132:133], v[48:49], v[128:129]
	;; [unrolled: 1-line block ×6, first 2 shown]
	v_add_f64 v[28:29], v[28:29], -v[70:71]
	v_fma_f64 v[108:109], v[126:127], s[0:1], v[108:109]
	v_add_f64 v[0:1], v[12:13], v[114:115]
	v_add_f64 v[12:13], v[12:13], -v[114:115]
	v_add_f64 v[70:71], v[46:47], v[72:73]
	v_add_f64 v[26:27], v[30:31], -v[60:61]
	v_add_f64 v[30:31], v[60:61], v[30:31]
	scratch_load_b32 v60, off, off offset:1672 ; 4-byte Folded Reload
	v_add_f64 v[2:3], v[14:15], -v[112:113]
	v_add_f64 v[50:51], v[110:111], v[134:135]
	v_add_f64 v[110:111], v[134:135], -v[110:111]
	v_add_f64 v[14:15], v[112:113], v[14:15]
	;; [unrolled: 2-line block ×3, first 2 shown]
	s_waitcnt vmcnt(0)
	ds_store_b128 v60, v[104:107]
	ds_store_b128 v60, v[24:27] offset:16
	ds_store_b128 v60, v[0:3] offset:32
	;; [unrolled: 1-line block ×6, first 2 shown]
	v_add_f64 v[0:1], v[86:87], v[16:17]
	v_add_f64 v[48:49], v[76:77], -v[18:19]
	v_add_f64 v[24:25], v[44:45], v[74:75]
	v_add_f64 v[26:27], v[44:45], -v[74:75]
	v_add_f64 v[60:61], v[74:75], -v[20:21]
	;; [unrolled: 1-line block ×7, first 2 shown]
	v_add_f64 v[70:71], v[70:71], v[22:23]
	v_add_f64 v[16:17], v[16:17], -v[40:41]
	v_add_f64 v[12:13], v[40:41], v[0:1]
	v_add_f64 v[0:1], v[76:77], v[18:19]
	v_add_f64 v[18:19], v[18:19], -v[42:43]
	v_add_f64 v[76:77], v[24:25], v[20:21]
	v_add_f64 v[40:41], v[20:21], -v[44:45]
	v_mul_f64 v[20:21], v[60:61], s[10:11]
	v_mul_f64 v[86:87], v[26:27], s[12:13]
	;; [unrolled: 1-line block ×6, first 2 shown]
	v_add_f64 v[14:15], v[42:43], v[0:1]
	v_add_f64 v[42:43], v[22:23], -v[46:47]
	v_mul_f64 v[22:23], v[72:73], s[10:11]
	v_mul_f64 v[46:47], v[18:19], s[20:21]
	v_fma_f64 v[16:17], v[40:41], s[24:25], -v[20:21]
	v_add_f64 v[0:1], v[136:137], v[12:13]
	v_fma_f64 v[24:25], v[28:29], s[14:15], -v[24:25]
	v_fma_f64 v[26:27], v[48:49], s[14:15], -v[26:27]
	;; [unrolled: 1-line block ×3, first 2 shown]
	v_fma_f64 v[30:31], v[30:31], s[8:9], v[44:45]
	v_add_f64 v[2:3], v[138:139], v[14:15]
	v_fma_f64 v[18:19], v[42:43], s[24:25], -v[22:23]
	v_fma_f64 v[22:23], v[48:49], s[22:23], -v[46:47]
	v_fma_f64 v[28:29], v[76:77], s[0:1], v[16:17]
	v_fma_f64 v[104:105], v[12:13], s[18:19], v[0:1]
	v_fma_f64 v[12:13], v[60:61], s[10:11], -v[86:87]
	v_fma_f64 v[106:107], v[14:15], s[18:19], v[2:3]
	v_fma_f64 v[48:49], v[70:71], s[0:1], v[18:19]
	s_delay_alu instid0(VALU_DEP_4) | instskip(NEXT) | instid1(VALU_DEP_4)
	v_add_f64 v[20:21], v[20:21], v[104:105]
	v_fma_f64 v[108:109], v[76:77], s[0:1], v[12:13]
	v_fma_f64 v[12:13], v[72:73], s[10:11], -v[74:75]
	v_add_f64 v[24:25], v[24:25], v[104:105]
	v_add_f64 v[22:23], v[22:23], v[106:107]
	;; [unrolled: 1-line block ×4, first 2 shown]
	v_add_f64 v[20:21], v[20:21], -v[48:49]
	v_fma_f64 v[110:111], v[70:71], s[0:1], v[12:13]
	v_add_f64 v[18:19], v[22:23], -v[28:29]
	v_add_f64 v[22:23], v[28:29], v[22:23]
	v_fma_f64 v[28:29], v[40:41], s[16:17], v[86:87]
	v_fma_f64 v[40:41], v[42:43], s[16:17], v[74:75]
	;; [unrolled: 1-line block ×3, first 2 shown]
	v_add_f64 v[46:47], v[30:31], v[104:105]
	v_add_f64 v[14:15], v[108:109], v[26:27]
	v_add_f64 v[12:13], v[24:25], -v[110:111]
	v_add_f64 v[24:25], v[24:25], v[110:111]
	v_add_f64 v[26:27], v[26:27], -v[108:109]
	v_fma_f64 v[44:45], v[76:77], s[0:1], v[28:29]
	v_fma_f64 v[40:41], v[70:71], s[0:1], v[40:41]
	v_add_f64 v[42:43], v[42:43], v[106:107]
	s_delay_alu instid0(VALU_DEP_2) | instskip(NEXT) | instid1(VALU_DEP_2)
	v_add_f64 v[28:29], v[46:47], v[40:41]
	v_add_f64 v[30:31], v[42:43], -v[44:45]
	v_add_f64 v[42:43], v[44:45], v[42:43]
	scratch_load_b32 v44, off, off offset:1600 ; 4-byte Folded Reload
	v_add_f64 v[40:41], v[46:47], -v[40:41]
	s_waitcnt vmcnt(0)
	ds_store_b128 v44, v[0:3]
	ds_store_b128 v44, v[28:31] offset:16
	ds_store_b128 v44, v[16:19] offset:32
	;; [unrolled: 1-line block ×6, first 2 shown]
	v_add_f64 v[0:1], v[96:97], v[32:33]
	v_add_f64 v[24:25], v[62:63], -v[96:97]
	v_add_f64 v[20:21], v[90:91], -v[36:37]
	;; [unrolled: 1-line block ×4, first 2 shown]
	v_add_f64 v[22:23], v[68:69], v[88:89]
	v_add_f64 v[30:31], v[88:89], -v[38:39]
	v_add_f64 v[18:19], v[94:95], -v[34:35]
	;; [unrolled: 1-line block ×3, first 2 shown]
	v_add_f64 v[12:13], v[62:63], v[0:1]
	v_add_f64 v[0:1], v[94:95], v[34:35]
	v_mul_f64 v[28:29], v[28:29], s[12:13]
	v_add_f64 v[42:43], v[22:23], v[38:39]
	s_delay_alu instid0(VALU_DEP_3) | instskip(SKIP_2) | instid1(VALU_DEP_3)
	v_add_f64 v[14:15], v[64:65], v[0:1]
	v_add_f64 v[0:1], v[8:9], v[12:13]
	;; [unrolled: 1-line block ×4, first 2 shown]
	v_add_f64 v[10:11], v[66:67], -v[90:91]
	s_delay_alu instid0(VALU_DEP_3)
	v_add_f64 v[40:41], v[8:9], v[36:37]
	v_mul_f64 v[8:9], v[24:25], s[8:9]
	v_fma_f64 v[46:47], v[12:13], s[18:19], v[0:1]
	v_fma_f64 v[48:49], v[14:15], s[18:19], v[2:3]
	v_mul_f64 v[44:45], v[10:11], s[12:13]
	v_mul_f64 v[10:11], v[26:27], s[8:9]
	v_fma_f64 v[8:9], v[16:17], s[14:15], -v[8:9]
	s_delay_alu instid0(VALU_DEP_3) | instskip(NEXT) | instid1(VALU_DEP_3)
	v_fma_f64 v[12:13], v[20:21], s[10:11], -v[44:45]
	v_fma_f64 v[10:11], v[18:19], s[14:15], -v[10:11]
	s_delay_alu instid0(VALU_DEP_3) | instskip(SKIP_1) | instid1(VALU_DEP_4)
	v_add_f64 v[22:23], v[8:9], v[46:47]
	v_mul_f64 v[20:21], v[20:21], s[10:11]
	v_fma_f64 v[14:15], v[40:41], s[0:1], v[12:13]
	v_fma_f64 v[12:13], v[30:31], s[10:11], -v[28:29]
	v_add_f64 v[50:51], v[10:11], v[48:49]
	s_delay_alu instid0(VALU_DEP_2) | instskip(NEXT) | instid1(VALU_DEP_2)
	v_fma_f64 v[12:13], v[42:43], s[0:1], v[12:13]
	v_add_f64 v[10:11], v[14:15], v[50:51]
	v_add_f64 v[14:15], v[50:51], -v[14:15]
	s_delay_alu instid0(VALU_DEP_3)
	v_add_f64 v[8:9], v[22:23], -v[12:13]
	v_add_f64 v[12:13], v[22:23], v[12:13]
	v_add_f64 v[22:23], v[32:33], -v[62:63]
	v_add_f64 v[32:33], v[34:35], -v[64:65]
	;; [unrolled: 1-line block ×4, first 2 shown]
	s_delay_alu instid0(VALU_DEP_4) | instskip(NEXT) | instid1(VALU_DEP_4)
	v_mul_f64 v[38:39], v[22:23], s[20:21]
	v_mul_f64 v[32:33], v[32:33], s[20:21]
	;; [unrolled: 1-line block ×3, first 2 shown]
	s_delay_alu instid0(VALU_DEP_4)
	v_fma_f64 v[28:29], v[36:37], s[16:17], v[28:29]
	v_fma_f64 v[20:21], v[34:35], s[24:25], -v[20:21]
	v_fma_f64 v[24:25], v[24:25], s[8:9], v[38:39]
	v_fma_f64 v[18:19], v[18:19], s[22:23], -v[32:33]
	v_fma_f64 v[26:27], v[26:27], s[8:9], v[32:33]
	v_fma_f64 v[28:29], v[42:43], s[0:1], v[28:29]
	v_fma_f64 v[16:17], v[16:17], s[22:23], -v[38:39]
	v_fma_f64 v[22:23], v[36:37], s[24:25], -v[22:23]
	v_fma_f64 v[60:61], v[40:41], s[0:1], v[20:21]
	v_add_f64 v[32:33], v[24:25], v[46:47]
	v_add_f64 v[50:51], v[18:19], v[48:49]
	;; [unrolled: 1-line block ×3, first 2 shown]
	v_fma_f64 v[22:23], v[42:43], s[0:1], v[22:23]
	v_add_f64 v[42:43], v[58:59], -v[84:85]
	v_add_f64 v[24:25], v[32:33], v[28:29]
	v_add_f64 v[28:29], v[32:33], -v[28:29]
	scratch_load_b32 v32, off, off offset:1576 ; 4-byte Folded Reload
	v_add_f64 v[18:19], v[50:51], -v[60:61]
	v_add_f64 v[16:17], v[30:31], v[22:23]
	v_add_f64 v[20:21], v[30:31], -v[22:23]
	v_fma_f64 v[30:31], v[34:35], s[16:17], v[44:45]
	v_add_f64 v[34:35], v[26:27], v[48:49]
	v_add_f64 v[22:23], v[60:61], v[50:51]
	s_delay_alu instid0(VALU_DEP_3) | instskip(SKIP_1) | instid1(VALU_DEP_2)
	v_fma_f64 v[30:31], v[40:41], s[0:1], v[30:31]
	v_add_f64 v[40:41], v[56:57], -v[82:83]
	v_add_f64 v[26:27], v[34:35], -v[30:31]
	v_add_f64 v[30:31], v[30:31], v[34:35]
	s_waitcnt vmcnt(0)
	ds_store_b128 v32, v[0:3]
	ds_store_b128 v32, v[24:27] offset:16
	ds_store_b128 v32, v[16:19] offset:32
	;; [unrolled: 1-line block ×6, first 2 shown]
	v_add_f64 v[0:1], v[102:103], v[52:53]
	v_add_f64 v[20:21], v[78:79], -v[102:103]
	v_add_f64 v[12:13], v[102:103], -v[52:53]
	;; [unrolled: 1-line block ×7, first 2 shown]
	v_add_f64 v[8:9], v[78:79], v[0:1]
	v_add_f64 v[0:1], v[100:101], v[54:55]
	s_delay_alu instid0(VALU_DEP_4) | instskip(NEXT) | instid1(VALU_DEP_2)
	v_mul_f64 v[36:37], v[18:19], s[12:13]
	v_add_f64 v[10:11], v[80:81], v[0:1]
	s_delay_alu instid0(VALU_DEP_4) | instskip(SKIP_1) | instid1(VALU_DEP_3)
	v_add_f64 v[0:1], v[4:5], v[8:9]
	v_add_f64 v[4:5], v[84:85], -v[98:99]
	v_add_f64 v[2:3], v[6:7], v[10:11]
	v_add_f64 v[6:7], v[84:85], v[98:99]
	s_delay_alu instid0(VALU_DEP_3)
	v_mul_f64 v[24:25], v[4:5], s[12:13]
	v_mul_f64 v[4:5], v[20:21], s[8:9]
	v_fma_f64 v[26:27], v[8:9], s[18:19], v[0:1]
	v_mul_f64 v[8:9], v[22:23], s[8:9]
	v_fma_f64 v[28:29], v[10:11], s[18:19], v[2:3]
	v_add_f64 v[10:11], v[82:83], v[92:93]
	v_add_f64 v[34:35], v[6:7], v[58:59]
	v_fma_f64 v[4:5], v[12:13], s[14:15], -v[4:5]
	v_fma_f64 v[8:9], v[14:15], s[14:15], -v[8:9]
	s_delay_alu instid0(VALU_DEP_4) | instskip(NEXT) | instid1(VALU_DEP_3)
	v_add_f64 v[32:33], v[10:11], v[56:57]
	v_add_f64 v[10:11], v[4:5], v[26:27]
	v_fma_f64 v[4:5], v[16:17], s[10:11], -v[24:25]
	s_delay_alu instid0(VALU_DEP_4) | instskip(SKIP_2) | instid1(VALU_DEP_4)
	v_add_f64 v[18:19], v[8:9], v[28:29]
	v_fma_f64 v[24:25], v[42:43], s[16:17], v[24:25]
	v_mul_f64 v[16:17], v[16:17], s[10:11]
	v_fma_f64 v[8:9], v[34:35], s[0:1], v[4:5]
	v_fma_f64 v[4:5], v[30:31], s[10:11], -v[36:37]
	s_delay_alu instid0(VALU_DEP_4) | instskip(NEXT) | instid1(VALU_DEP_4)
	v_fma_f64 v[24:25], v[34:35], s[0:1], v[24:25]
	v_fma_f64 v[16:17], v[42:43], s[24:25], -v[16:17]
	s_delay_alu instid0(VALU_DEP_3) | instskip(SKIP_2) | instid1(VALU_DEP_4)
	v_fma_f64 v[38:39], v[32:33], s[0:1], v[4:5]
	v_add_f64 v[4:5], v[10:11], -v[8:9]
	v_add_f64 v[8:9], v[10:11], v[8:9]
	v_fma_f64 v[16:17], v[34:35], s[0:1], v[16:17]
	s_delay_alu instid0(VALU_DEP_4) | instskip(SKIP_3) | instid1(VALU_DEP_2)
	v_add_f64 v[6:7], v[38:39], v[18:19]
	v_add_f64 v[10:11], v[18:19], -v[38:39]
	v_add_f64 v[18:19], v[52:53], -v[78:79]
	;; [unrolled: 1-line block ×3, first 2 shown]
	v_mul_f64 v[44:45], v[18:19], s[20:21]
	v_mul_f64 v[18:19], v[30:31], s[10:11]
	s_delay_alu instid0(VALU_DEP_3) | instskip(NEXT) | instid1(VALU_DEP_3)
	v_mul_f64 v[38:39], v[38:39], s[20:21]
	v_fma_f64 v[12:13], v[12:13], s[22:23], -v[44:45]
	v_fma_f64 v[20:21], v[20:21], s[8:9], v[44:45]
	s_delay_alu instid0(VALU_DEP_3)
	v_fma_f64 v[14:15], v[14:15], s[22:23], -v[38:39]
	v_fma_f64 v[22:23], v[22:23], s[8:9], v[38:39]
	v_fma_f64 v[18:19], v[40:41], s[24:25], -v[18:19]
	v_add_f64 v[30:31], v[12:13], v[26:27]
	v_add_f64 v[26:27], v[20:21], v[26:27]
	;; [unrolled: 1-line block ×4, first 2 shown]
	v_fma_f64 v[18:19], v[32:33], s[0:1], v[18:19]
	v_add_f64 v[12:13], v[30:31], v[16:17]
	v_add_f64 v[20:21], v[26:27], v[24:25]
	v_add_f64 v[100:101], v[26:27], -v[24:25]
	scratch_load_b32 v24, off, off offset:1568 ; 4-byte Folded Reload
	v_add_f64 v[16:17], v[30:31], -v[16:17]
	v_fma_f64 v[30:31], v[40:41], s[16:17], v[36:37]
	v_add_f64 v[14:15], v[46:47], -v[18:19]
	v_add_f64 v[18:19], v[18:19], v[46:47]
	s_delay_alu instid0(VALU_DEP_3) | instskip(NEXT) | instid1(VALU_DEP_1)
	v_fma_f64 v[30:31], v[32:33], s[0:1], v[30:31]
	v_add_f64 v[22:23], v[28:29], -v[30:31]
	v_add_f64 v[102:103], v[30:31], v[28:29]
	s_waitcnt vmcnt(0)
	ds_store_b128 v24, v[0:3]
	ds_store_b128 v24, v[20:23] offset:16
	ds_store_b128 v24, v[12:15] offset:32
	;; [unrolled: 1-line block ×6, first 2 shown]
	s_waitcnt lgkmcnt(0)
	s_barrier
	buffer_gl0_inv
	ds_load_b128 v[116:119], v252
	ds_load_b128 v[112:115], v252 offset:272
	ds_load_b128 v[132:135], v252 offset:560
	;; [unrolled: 1-line block ×33, first 2 shown]
	s_and_saveexec_b32 s0, vcc_lo
	s_cbranch_execz .LBB0_7
; %bb.6:
	scratch_load_b32 v0, off, off offset:4  ; 4-byte Folded Reload
	ds_load_b128 v[100:103], v252 offset:544
	s_waitcnt vmcnt(0)
	ds_load_b128 v[68:71], v0 offset:1104
	s_waitcnt lgkmcnt(0)
	scratch_store_b128 off, v[68:71], off offset:64 ; 16-byte Folded Spill
	ds_load_b128 v[68:71], v0 offset:1664
	s_waitcnt lgkmcnt(0)
	scratch_store_b128 off, v[68:71], off offset:16 ; 16-byte Folded Spill
	;; [unrolled: 3-line block ×14, first 2 shown]
	ds_load_b128 v[68:71], v0 offset:8944
	ds_load_b128 v[0:3], v0 offset:9504
	s_waitcnt lgkmcnt(1)
	scratch_store_b128 off, v[68:71], off offset:32 ; 16-byte Folded Spill
	s_waitcnt lgkmcnt(0)
	scratch_store_b128 off, v[0:3], off offset:96 ; 16-byte Folded Spill
.LBB0_7:
	s_or_b32 exec_lo, exec_lo, s0
	s_clause 0x6
	scratch_load_b128 v[68:71], off, off offset:1584
	scratch_load_b128 v[192:195], off, off offset:1552
	;; [unrolled: 1-line block ×7, first 2 shown]
	s_mov_b32 s30, 0x5d8e7cdc
	s_mov_b32 s0, 0x370991
	;; [unrolled: 1-line block ×48, first 2 shown]
	s_clause 0x2
	scratch_load_b128 v[80:83], off, off offset:1760
	scratch_load_b128 v[162:165], off, off offset:1680
	;; [unrolled: 1-line block ×3, first 2 shown]
	s_waitcnt vmcnt(9) lgkmcnt(31)
	v_mul_f64 v[0:1], v[70:71], v[134:135]
	s_delay_alu instid0(VALU_DEP_1)
	v_fma_f64 v[142:143], v[68:69], v[132:133], v[0:1]
	v_mul_f64 v[0:1], v[70:71], v[132:133]
	s_waitcnt vmcnt(0) lgkmcnt(14)
	v_mul_f64 v[150:151], v[178:179], v[230:231]
	v_mul_f64 v[152:153], v[178:179], v[228:229]
	scratch_load_b128 v[178:181], off, off offset:1456 ; 16-byte Folded Reload
	v_fma_f64 v[146:147], v[68:69], v[134:135], -v[0:1]
	scratch_load_b128 v[68:71], off, off offset:1824 ; 16-byte Folded Reload
	s_waitcnt vmcnt(0)
	v_mul_f64 v[0:1], v[70:71], v[130:131]
	s_delay_alu instid0(VALU_DEP_1) | instskip(SKIP_1) | instid1(VALU_DEP_1)
	v_fma_f64 v[140:141], v[68:69], v[128:129], v[0:1]
	v_mul_f64 v[0:1], v[70:71], v[128:129]
	v_fma_f64 v[144:145], v[68:69], v[130:131], -v[0:1]
	scratch_load_b128 v[68:71], off, off offset:1840 ; 16-byte Folded Reload
	s_waitcnt vmcnt(0)
	v_mul_f64 v[0:1], v[70:71], v[22:23]
	s_delay_alu instid0(VALU_DEP_1) | instskip(SKIP_1) | instid1(VALU_DEP_1)
	v_fma_f64 v[136:137], v[68:69], v[20:21], v[0:1]
	v_mul_f64 v[0:1], v[70:71], v[20:21]
	;; [unrolled: 7-line block ×3, first 2 shown]
	v_fma_f64 v[134:135], v[20:21], v[66:67], -v[0:1]
	s_clause 0x1
	scratch_load_b128 v[20:23], off, off offset:1888
	scratch_load_b128 v[66:69], off, off offset:1792
	s_waitcnt vmcnt(1)
	v_mul_f64 v[0:1], v[22:23], v[62:63]
	s_delay_alu instid0(VALU_DEP_1) | instskip(SKIP_1) | instid1(VALU_DEP_1)
	v_fma_f64 v[74:75], v[20:21], v[60:61], v[0:1]
	v_mul_f64 v[0:1], v[22:23], v[60:61]
	v_fma_f64 v[130:131], v[20:21], v[62:63], -v[0:1]
	s_clause 0x1
	scratch_load_b128 v[20:23], off, off offset:1872
	scratch_load_b128 v[60:63], off, off offset:1808
	s_waitcnt vmcnt(1)
	v_mul_f64 v[0:1], v[22:23], v[58:59]
	v_mul_f64 v[2:3], v[22:23], v[56:57]
	s_delay_alu instid0(VALU_DEP_2) | instskip(NEXT) | instid1(VALU_DEP_2)
	v_fma_f64 v[78:79], v[20:21], v[56:57], v[0:1]
	v_fma_f64 v[90:91], v[20:21], v[58:59], -v[2:3]
	scratch_load_b128 v[56:59], off, off offset:1776 ; 16-byte Folded Reload
	s_waitcnt vmcnt(1)
	v_mul_f64 v[0:1], v[62:63], v[54:55]
	v_mul_f64 v[2:3], v[62:63], v[52:53]
	s_delay_alu instid0(VALU_DEP_2) | instskip(NEXT) | instid1(VALU_DEP_2)
	v_fma_f64 v[253:254], v[60:61], v[52:53], v[0:1]
	v_fma_f64 v[110:111], v[60:61], v[54:55], -v[2:3]
	scratch_load_b128 v[60:63], off, off offset:1744 ; 16-byte Folded Reload
	s_waitcnt lgkmcnt(13)
	v_mul_f64 v[52:53], v[68:69], v[42:43]
	v_mul_f64 v[54:55], v[68:69], v[40:41]
	scratch_load_b128 v[68:71], off, off offset:1728 ; 16-byte Folded Reload
	v_fma_f64 v[40:41], v[66:67], v[40:41], v[52:53]
	v_fma_f64 v[88:89], v[66:67], v[42:43], -v[54:55]
	s_waitcnt lgkmcnt(3)
	v_mul_f64 v[42:43], v[86:87], v[16:17]
	s_waitcnt lgkmcnt(1)
	v_mul_f64 v[52:53], v[156:157], v[14:15]
	v_mul_f64 v[54:55], v[156:157], v[12:13]
	;; [unrolled: 1-line block ×3, first 2 shown]
	s_waitcnt vmcnt(2)
	v_mul_f64 v[20:21], v[58:59], v[50:51]
	v_mul_f64 v[22:23], v[58:59], v[48:49]
	s_delay_alu instid0(VALU_DEP_2) | instskip(NEXT) | instid1(VALU_DEP_2)
	v_fma_f64 v[98:99], v[56:57], v[48:49], v[20:21]
	v_fma_f64 v[108:109], v[56:57], v[50:51], -v[22:23]
	scratch_load_b128 v[56:59], off, off offset:1696 ; 16-byte Folded Reload
	s_waitcnt vmcnt(2)
	v_mul_f64 v[0:1], v[62:63], v[46:47]
	v_mul_f64 v[2:3], v[62:63], v[44:45]
	s_delay_alu instid0(VALU_DEP_2) | instskip(NEXT) | instid1(VALU_DEP_2)
	v_fma_f64 v[64:65], v[60:61], v[44:45], v[0:1]
	v_fma_f64 v[62:63], v[60:61], v[46:47], -v[2:3]
	v_mul_f64 v[44:45], v[82:83], v[26:27]
	v_mul_f64 v[46:47], v[82:83], v[24:25]
	s_delay_alu instid0(VALU_DEP_2) | instskip(NEXT) | instid1(VALU_DEP_2)
	v_fma_f64 v[94:95], v[80:81], v[24:25], v[44:45]
	v_fma_f64 v[96:97], v[80:81], v[26:27], -v[46:47]
	scratch_load_b128 v[80:83], off, off offset:1408 ; 16-byte Folded Reload
	v_add_f64 v[26:27], v[118:119], v[146:147]
	s_waitcnt vmcnt(1)
	v_mul_f64 v[48:49], v[58:59], v[34:35]
	v_mul_f64 v[50:51], v[58:59], v[32:33]
	scratch_load_b128 v[58:61], off, off offset:1712 ; 16-byte Folded Reload
	v_mul_f64 v[20:21], v[70:71], v[38:39]
	v_mul_f64 v[22:23], v[70:71], v[36:37]
	v_fma_f64 v[48:49], v[56:57], v[32:33], v[48:49]
	v_mul_f64 v[32:33], v[168:169], v[6:7]
	v_fma_f64 v[128:129], v[56:57], v[34:35], -v[50:51]
	v_fma_f64 v[76:77], v[68:69], v[36:37], v[20:21]
	v_mul_f64 v[36:37], v[164:165], v[10:11]
	v_fma_f64 v[66:67], v[68:69], v[38:39], -v[22:23]
	v_mul_f64 v[38:39], v[164:165], v[8:9]
	scratch_load_b128 v[68:71], off, off offset:1344 ; 16-byte Folded Reload
	v_mul_f64 v[20:21], v[160:161], v[122:123]
	v_mul_f64 v[22:23], v[160:161], v[120:121]
	;; [unrolled: 1-line block ×3, first 2 shown]
	s_waitcnt vmcnt(2)
	v_mul_f64 v[24:25], v[82:83], v[238:239]
	v_mul_f64 v[44:45], v[82:83], v[236:237]
	v_fma_f64 v[82:83], v[84:85], v[18:19], -v[42:43]
	v_fma_f64 v[42:43], v[154:155], v[12:13], v[52:53]
	v_fma_f64 v[12:13], v[158:159], v[120:121], v[20:21]
	v_fma_f64 v[46:47], v[158:159], v[122:123], -v[22:23]
	s_waitcnt vmcnt(1)
	v_mul_f64 v[0:1], v[60:61], v[30:31]
	v_mul_f64 v[2:3], v[60:61], v[28:29]
	s_delay_alu instid0(VALU_DEP_2) | instskip(NEXT) | instid1(VALU_DEP_2)
	v_fma_f64 v[104:105], v[58:59], v[28:29], v[0:1]
	v_fma_f64 v[106:107], v[58:59], v[30:31], -v[2:3]
	scratch_load_b128 v[0:3], off, off offset:1376 ; 16-byte Folded Reload
	v_fma_f64 v[28:29], v[154:155], v[14:15], -v[54:55]
	v_mul_f64 v[154:155], v[180:181], v[222:223]
	scratch_load_b128 v[180:183], off, off offset:1472 ; 16-byte Folded Reload
	v_add_f64 v[170:171], v[146:147], -v[28:29]
	v_add_f64 v[146:147], v[146:147], v[28:29]
	s_waitcnt vmcnt(1)
	v_mul_f64 v[30:31], v[2:3], v[246:247]
	v_mul_f64 v[58:59], v[2:3], v[244:245]
	v_fma_f64 v[2:3], v[162:163], v[8:9], v[36:37]
	v_mul_f64 v[8:9], v[194:195], v[210:211]
	v_dual_mov_b32 v36, v64 :: v_dual_mov_b32 v37, v65
	v_fma_f64 v[22:23], v[0:1], v[244:245], v[30:31]
	v_fma_f64 v[20:21], v[0:1], v[246:247], -v[58:59]
	scratch_store_b64 off, v[2:3], off offset:1728 ; 8-byte Folded Spill
	v_fma_f64 v[2:3], v[162:163], v[10:11], -v[38:39]
	v_fma_f64 v[0:1], v[80:81], v[236:237], v[24:25]
	v_mul_f64 v[10:11], v[194:195], v[208:209]
	v_dual_mov_b32 v38, v98 :: v_dual_mov_b32 v39, v99
	scratch_store_b64 off, v[2:3], off offset:1744 ; 8-byte Folded Spill
	v_fma_f64 v[2:3], v[166:167], v[4:5], v[32:33]
	scratch_store_b64 off, v[40:41], off offset:1360 ; 8-byte Folded Spill
	v_mul_f64 v[40:41], v[86:87], v[18:19]
	scratch_store_b64 off, v[0:1], off offset:1680 ; 8-byte Folded Spill
	v_fma_f64 v[0:1], v[80:81], v[238:239], -v[44:45]
	v_dual_mov_b32 v32, v108 :: v_dual_mov_b32 v33, v109
	scratch_store_b64 off, v[2:3], off offset:1608 ; 8-byte Folded Spill
	v_fma_f64 v[2:3], v[166:167], v[6:7], -v[34:35]
	v_fma_f64 v[92:93], v[84:85], v[16:17], v[40:41]
	scratch_load_b128 v[84:87], off, off offset:1424 ; 16-byte Folded Reload
	scratch_store_b64 off, v[0:1], off offset:1696 ; 8-byte Folded Spill
	v_add_f64 v[16:17], v[116:117], v[142:143]
	v_add_f64 v[6:7], v[26:27], v[144:145]
	v_dual_mov_b32 v35, v13 :: v_dual_mov_b32 v34, v12
	scratch_load_b64 v[24:25], off, off offset:1608 ; 8-byte Folded Reload
	v_add_f64 v[174:175], v[6:7], v[138:139]
	s_waitcnt vmcnt(1)
	v_mul_f64 v[18:19], v[86:87], v[234:235]
	v_mul_f64 v[40:41], v[86:87], v[232:233]
	s_delay_alu instid0(VALU_DEP_2)
	v_fma_f64 v[0:1], v[84:85], v[232:233], v[18:19]
	v_dual_mov_b32 v18, v253 :: v_dual_mov_b32 v19, v254
	scratch_store_b64 off, v[0:1], off offset:1584 ; 8-byte Folded Spill
	v_fma_f64 v[0:1], v[84:85], v[234:235], -v[40:41]
	scratch_store_b64 off, v[0:1], off offset:1600 ; 8-byte Folded Spill
	v_fma_f64 v[0:1], v[176:177], v[228:229], v[150:151]
	scratch_store_b64 off, v[2:3], off offset:1624 ; 8-byte Folded Spill
	scratch_load_b128 v[2:5], off, off offset:1520 ; 16-byte Folded Reload
	v_mul_f64 v[52:53], v[186:187], v[226:227]
	v_mul_f64 v[54:55], v[186:187], v[224:225]
	scratch_load_b128 v[186:189], off, off offset:1504 ; 16-byte Folded Reload
	v_mul_f64 v[120:121], v[182:183], v[218:219]
	v_mul_f64 v[122:123], v[182:183], v[216:217]
	;; [unrolled: 1-line block ×3, first 2 shown]
	scratch_store_b64 off, v[0:1], off offset:1568 ; 8-byte Folded Spill
	v_fma_f64 v[0:1], v[176:177], v[230:231], -v[152:153]
	v_mul_f64 v[152:153], v[170:171], s[54:55]
	v_mul_f64 v[176:177], v[146:147], s[14:15]
	v_fma_f64 v[40:41], v[180:181], v[216:217], v[120:121]
	v_fma_f64 v[44:45], v[180:181], v[218:219], -v[122:123]
	v_add_f64 v[120:121], v[142:143], v[42:43]
	v_add_f64 v[122:123], v[142:143], -v[42:43]
	v_mul_f64 v[142:143], v[170:171], s[30:31]
	v_mul_f64 v[180:181], v[146:147], s[10:11]
	scratch_store_b64 off, v[0:1], off offset:1576 ; 8-byte Folded Spill
	v_fma_f64 v[0:1], v[184:185], v[224:225], v[52:53]
	v_fma_f64 v[228:229], v[122:123], s[28:29], v[176:177]
	;; [unrolled: 1-line block ×5, first 2 shown]
	scratch_store_b64 off, v[0:1], off offset:1424 ; 8-byte Folded Spill
	v_fma_f64 v[0:1], v[184:185], v[226:227], -v[54:55]
	v_fma_f64 v[54:55], v[192:193], v[208:209], v[8:9]
	scratch_load_b64 v[8:9], off, off offset:1360 ; 8-byte Folded Reload
	v_mul_f64 v[50:51], v[70:71], v[250:251]
	v_mul_f64 v[56:57], v[70:71], v[248:249]
	scratch_load_b128 v[70:73], off, off offset:1392 ; 16-byte Folded Reload
	v_fma_f64 v[208:209], v[122:123], s[42:43], v[150:151]
	v_fma_f64 v[150:151], v[122:123], s[30:31], v[150:151]
	v_add_f64 v[228:229], v[118:119], v[228:229]
	v_add_f64 v[176:177], v[118:119], v[176:177]
	;; [unrolled: 1-line block ×4, first 2 shown]
	scratch_store_b64 off, v[0:1], off offset:1440 ; 8-byte Folded Spill
	v_fma_f64 v[0:1], v[178:179], v[220:221], v[154:155]
	v_fma_f64 v[14:15], v[68:69], v[250:251], -v[56:57]
	v_add_f64 v[208:209], v[118:119], v[208:209]
	v_add_f64 v[150:151], v[118:119], v[150:151]
	scratch_store_b64 off, v[0:1], off offset:1392 ; 8-byte Folded Spill
	v_fma_f64 v[0:1], v[178:179], v[222:223], -v[156:157]
	v_add_f64 v[156:157], v[174:175], v[134:135]
	scratch_store_b64 off, v[14:15], off offset:1712 ; 8-byte Folded Spill
	v_mul_f64 v[174:175], v[170:171], s[20:21]
	v_mul_f64 v[178:179], v[170:171], s[22:23]
	scratch_store_b64 off, v[0:1], off offset:1408 ; 8-byte Folded Spill
	v_add_f64 v[156:157], v[156:157], v[130:131]
	v_fma_f64 v[226:227], v[120:121], s[14:15], v[174:175]
	v_fma_f64 v[174:175], v[120:121], s[14:15], -v[174:175]
	v_fma_f64 v[230:231], v[120:121], s[10:11], v[178:179]
	v_fma_f64 v[178:179], v[120:121], s[10:11], -v[178:179]
	v_add_f64 v[156:157], v[156:157], v[90:91]
	v_add_f64 v[226:227], v[116:117], v[226:227]
	;; [unrolled: 1-line block ×5, first 2 shown]
	s_waitcnt vmcnt(3) lgkmcnt(0)
	v_mul_f64 v[166:167], v[4:5], v[126:127]
	v_mul_f64 v[168:169], v[4:5], v[124:125]
	v_add_f64 v[4:5], v[16:17], v[140:141]
	s_waitcnt vmcnt(2)
	v_mul_f64 v[158:159], v[188:189], v[214:215]
	v_mul_f64 v[160:161], v[188:189], v[212:213]
	scratch_load_b128 v[188:191], off, off offset:1536 ; 16-byte Folded Reload
	v_fma_f64 v[16:17], v[68:69], v[248:249], v[50:51]
	v_fma_f64 v[0:1], v[2:3], v[124:125], v[166:167]
	v_mul_f64 v[124:125], v[170:171], s[36:37]
	v_add_f64 v[172:173], v[4:5], v[136:137]
	v_fma_f64 v[50:51], v[186:187], v[212:213], v[158:159]
	v_mul_f64 v[158:159], v[146:147], s[8:9]
	v_fma_f64 v[52:53], v[186:187], v[214:215], -v[160:161]
	scratch_store_b64 off, v[16:17], off offset:1656 ; 8-byte Folded Spill
	v_add_f64 v[160:161], v[140:141], v[92:93]
	v_add_f64 v[140:141], v[140:141], -v[92:93]
	v_add_f64 v[166:167], v[138:139], v[96:97]
	v_add_f64 v[138:139], v[138:139], -v[96:97]
	scratch_store_b64 off, v[0:1], off offset:1376 ; 8-byte Folded Spill
	v_fma_f64 v[0:1], v[2:3], v[126:127], -v[168:169]
	v_add_f64 v[154:155], v[172:173], v[132:133]
	v_mul_f64 v[126:127], v[146:147], s[16:17]
	v_mul_f64 v[168:169], v[170:171], s[52:53]
	;; [unrolled: 1-line block ×3, first 2 shown]
	v_fma_f64 v[212:213], v[122:123], s[18:19], v[158:159]
	v_fma_f64 v[158:159], v[122:123], s[54:55], v[158:159]
	;; [unrolled: 1-line block ×3, first 2 shown]
	v_fma_f64 v[124:125], v[120:121], s[16:17], -v[124:125]
	scratch_store_b64 off, v[20:21], off offset:1640 ; 8-byte Folded Spill
	v_mul_f64 v[2:3], v[166:167], s[14:15]
	scratch_store_b64 off, v[0:1], off offset:8 ; 8-byte Folded Spill
	v_add_f64 v[154:155], v[154:155], v[74:75]
	v_fma_f64 v[216:217], v[122:123], s[50:51], v[126:127]
	v_fma_f64 v[126:127], v[122:123], s[36:37], v[126:127]
	;; [unrolled: 1-line block ×3, first 2 shown]
	s_waitcnt vmcnt(1)
	v_mul_f64 v[148:149], v[72:73], v[240:241]
	v_mul_f64 v[60:61], v[72:73], v[242:243]
	v_fma_f64 v[224:225], v[122:123], s[44:45], v[172:173]
	v_fma_f64 v[168:169], v[120:121], s[34:35], -v[168:169]
	v_fma_f64 v[172:173], v[122:123], s[52:53], v[172:173]
	v_add_f64 v[212:213], v[118:119], v[212:213]
	v_add_f64 v[158:159], v[118:119], v[158:159]
	;; [unrolled: 1-line block ×8, first 2 shown]
	v_fma_f64 v[26:27], v[70:71], v[242:243], -v[148:149]
	v_add_f64 v[148:149], v[144:145], -v[82:83]
	v_add_f64 v[144:145], v[144:145], v[82:83]
	v_fma_f64 v[30:31], v[70:71], v[240:241], v[60:61]
	v_fma_f64 v[60:61], v[192:193], v[210:211], -v[10:11]
	v_fma_f64 v[210:211], v[120:121], s[8:9], v[152:153]
	v_fma_f64 v[152:153], v[120:121], s[8:9], -v[152:153]
	v_add_f64 v[224:225], v[118:119], v[224:225]
	v_add_f64 v[168:169], v[116:117], v[168:169]
	;; [unrolled: 1-line block ×3, first 2 shown]
	v_dual_mov_b32 v10, v62 :: v_dual_mov_b32 v11, v63
	v_mul_f64 v[182:183], v[148:149], s[54:55]
	v_mul_f64 v[184:185], v[144:145], s[8:9]
	;; [unrolled: 1-line block ×9, first 2 shown]
	v_add_f64 v[210:211], v[116:117], v[210:211]
	v_add_f64 v[152:153], v[116:117], v[152:153]
	v_mul_f64 v[246:247], v[148:149], s[50:51]
	v_mul_f64 v[248:249], v[144:145], s[16:17]
	v_fma_f64 v[238:239], v[160:161], s[24:25], v[186:187]
	v_fma_f64 v[186:187], v[160:161], s[24:25], -v[186:187]
	v_fma_f64 v[244:245], v[140:141], s[28:29], v[192:193]
	s_delay_alu instid0(VALU_DEP_1)
	v_add_f64 v[250:251], v[244:245], v[216:217]
	v_fma_f64 v[216:217], v[140:141], s[50:51], v[248:249]
	s_waitcnt vmcnt(0)
	v_mul_f64 v[162:163], v[190:191], v[206:207]
	v_mul_f64 v[164:165], v[190:191], v[204:205]
	v_mul_f64 v[190:191], v[148:149], s[20:21]
	v_mul_f64 v[148:149], v[148:149], s[42:43]
	s_delay_alu instid0(VALU_DEP_4) | instskip(NEXT) | instid1(VALU_DEP_4)
	v_fma_f64 v[58:59], v[188:189], v[204:205], v[162:163]
	v_fma_f64 v[56:57], v[188:189], v[206:207], -v[164:165]
	v_mul_f64 v[162:163], v[170:171], s[26:27]
	v_mul_f64 v[164:165], v[146:147], s[24:25]
	;; [unrolled: 1-line block ×5, first 2 shown]
	v_fma_f64 v[206:207], v[120:121], s[0:1], v[142:143]
	v_fma_f64 v[142:143], v[120:121], s[0:1], -v[142:143]
	v_fma_f64 v[242:243], v[160:161], s[14:15], v[190:191]
	v_mul_f64 v[204:205], v[144:145], s[34:35]
	v_mul_f64 v[144:145], v[144:145], s[0:1]
	v_fma_f64 v[244:245], v[160:161], s[0:1], v[148:149]
	v_fma_f64 v[0:1], v[160:161], s[0:1], -v[148:149]
	v_mul_f64 v[148:149], v[138:139], s[20:21]
	v_fma_f64 v[218:219], v[120:121], s[24:25], v[162:163]
	v_fma_f64 v[220:221], v[122:123], s[38:39], v[164:165]
	v_fma_f64 v[162:163], v[120:121], s[24:25], -v[162:163]
	v_fma_f64 v[164:165], v[122:123], s[26:27], v[164:165]
	v_fma_f64 v[234:235], v[120:121], s[12:13], v[170:171]
	v_fma_f64 v[236:237], v[122:123], s[46:47], v[146:147]
	v_fma_f64 v[120:121], v[120:121], s[12:13], -v[170:171]
	v_fma_f64 v[122:123], v[122:123], s[40:41], v[146:147]
	;; [unrolled: 4-line block ×3, first 2 shown]
	v_fma_f64 v[188:189], v[140:141], s[26:27], v[188:189]
	v_add_f64 v[206:207], v[116:117], v[206:207]
	v_add_f64 v[142:143], v[116:117], v[142:143]
	v_fma_f64 v[184:185], v[140:141], s[54:55], v[184:185]
	v_add_f64 v[218:219], v[116:117], v[218:219]
	v_add_f64 v[220:221], v[118:119], v[220:221]
	v_add_f64 v[162:163], v[116:117], v[162:163]
	v_add_f64 v[164:165], v[118:119], v[164:165]
	v_add_f64 v[234:235], v[116:117], v[234:235]
	v_add_f64 v[236:237], v[118:119], v[236:237]
	v_add_f64 v[116:117], v[116:117], v[120:121]
	v_add_f64 v[120:121], v[154:155], v[253:254]
	v_add_f64 v[154:155], v[156:157], v[110:111]
	v_add_f64 v[122:123], v[118:119], v[122:123]
	v_add_f64 v[170:171], v[170:171], v[208:209]
	v_add_f64 v[208:209], v[238:239], v[210:211]
	v_add_f64 v[210:211], v[240:241], v[212:213]
	v_add_f64 v[206:207], v[146:147], v[206:207]
	v_add_f64 v[182:183], v[182:183], v[142:143]
	v_add_f64 v[212:213], v[186:187], v[152:153]
	v_add_f64 v[188:189], v[188:189], v[158:159]
	v_add_f64 v[240:241], v[242:243], v[214:215]
	v_fma_f64 v[118:119], v[160:161], s[14:15], -v[190:191]
	v_fma_f64 v[142:143], v[140:141], s[20:21], v[192:193]
	v_fma_f64 v[146:147], v[160:161], s[12:13], v[194:195]
	v_fma_f64 v[152:153], v[160:161], s[12:13], -v[194:195]
	v_fma_f64 v[156:157], v[140:141], s[40:41], v[196:197]
	v_fma_f64 v[158:159], v[160:161], s[10:11], v[198:199]
	v_fma_f64 v[190:191], v[160:161], s[10:11], -v[198:199]
	v_fma_f64 v[192:193], v[140:141], s[48:49], v[200:201]
	v_fma_f64 v[194:195], v[160:161], s[34:35], v[202:203]
	v_fma_f64 v[198:199], v[160:161], s[34:35], -v[202:203]
	v_fma_f64 v[202:203], v[160:161], s[16:17], v[246:247]
	v_fma_f64 v[214:215], v[160:161], s[16:17], -v[246:247]
	v_add_f64 v[238:239], v[136:137], v[94:95]
	v_mul_f64 v[242:243], v[138:139], s[36:37]
	v_add_f64 v[246:247], v[136:137], -v[94:95]
	v_mul_f64 v[136:137], v[166:167], s[16:17]
	v_add_f64 v[184:185], v[184:185], v[150:151]
	v_fma_f64 v[150:151], v[140:141], s[46:47], v[196:197]
	v_fma_f64 v[186:187], v[140:141], s[22:23], v[200:201]
	;; [unrolled: 1-line block ×7, first 2 shown]
	v_add_f64 v[120:121], v[120:121], v[98:99]
	v_mul_f64 v[98:99], v[166:167], s[12:13]
	v_add_f64 v[160:161], v[154:155], v[108:109]
	v_mul_f64 v[108:109], v[138:139], s[46:47]
	v_add_f64 v[4:5], v[118:119], v[124:125]
	v_add_f64 v[6:7], v[142:143], v[126:127]
	;; [unrolled: 1-line block ×6, first 2 shown]
	v_add_f64 v[158:159], v[134:135], -v[106:107]
	v_add_f64 v[144:145], v[192:193], v[172:173]
	v_mul_f64 v[192:193], v[166:167], s[0:1]
	v_mul_f64 v[222:223], v[138:139], s[44:45]
	v_add_f64 v[142:143], v[190:191], v[168:169]
	v_mul_f64 v[168:169], v[138:139], s[18:19]
	v_fma_f64 v[70:71], v[238:239], s[14:15], v[148:149]
	v_fma_f64 v[68:69], v[238:239], s[16:17], v[242:243]
	v_fma_f64 v[242:243], v[238:239], s[16:17], -v[242:243]
	v_fma_f64 v[86:87], v[246:247], s[36:37], v[136:137]
	v_fma_f64 v[80:81], v[238:239], s[14:15], -v[148:149]
	v_fma_f64 v[84:85], v[246:247], s[50:51], v[136:137]
	v_add_f64 v[154:155], v[186:187], v[224:225]
	v_mul_f64 v[172:173], v[166:167], s[8:9]
	v_add_f64 v[136:137], v[0:1], v[116:117]
	v_add_f64 v[220:221], v[150:151], v[220:221]
	v_fma_f64 v[162:163], v[246:247], s[28:29], v[2:3]
	v_add_f64 v[146:147], v[194:195], v[226:227]
	v_mul_f64 v[190:191], v[138:139], s[30:31]
	v_add_f64 v[150:151], v[198:199], v[174:175]
	v_mul_f64 v[174:175], v[138:139], s[26:27]
	v_mul_f64 v[226:227], v[138:139], s[22:23]
	v_add_f64 v[126:127], v[214:215], v[178:179]
	v_add_f64 v[138:139], v[253:254], v[122:123]
	v_mul_f64 v[224:225], v[166:167], s[34:35]
	v_add_f64 v[148:149], v[196:197], v[228:229]
	v_add_f64 v[152:153], v[200:201], v[176:177]
	;; [unrolled: 1-line block ×4, first 2 shown]
	v_mul_f64 v[176:177], v[166:167], s[24:25]
	v_add_f64 v[124:125], v[244:245], v[234:235]
	v_mul_f64 v[166:167], v[166:167], s[10:11]
	v_add_f64 v[194:195], v[120:121], v[64:65]
	v_add_f64 v[120:121], v[216:217], v[180:181]
	v_add_f64 v[196:197], v[160:161], v[62:63]
	v_add_f64 v[160:161], v[134:135], v[106:107]
	v_add_f64 v[134:135], v[248:249], v[236:237]
	v_add_f64 v[62:63], v[90:91], -v[66:67]
	v_mul_f64 v[230:231], v[158:159], s[40:41]
	v_mul_f64 v[234:235], v[158:159], s[44:45]
	v_fma_f64 v[253:254], v[238:239], s[34:35], -v[222:223]
	v_fma_f64 v[0:1], v[238:239], s[8:9], -v[168:169]
	v_add_f64 v[186:187], v[70:71], v[208:209]
	v_fma_f64 v[208:209], v[246:247], s[30:31], v[192:193]
	v_add_f64 v[182:183], v[242:243], v[182:183]
	v_add_f64 v[184:185], v[86:87], v[184:185]
	;; [unrolled: 1-line block ×3, first 2 shown]
	v_fma_f64 v[80:81], v[246:247], s[40:41], v[98:99]
	v_fma_f64 v[86:87], v[246:247], s[46:47], v[98:99]
	;; [unrolled: 1-line block ×3, first 2 shown]
	v_add_f64 v[192:193], v[132:133], v[104:105]
	v_mul_f64 v[242:243], v[158:159], s[26:27]
	v_add_f64 v[178:179], v[68:69], v[206:207]
	v_fma_f64 v[68:69], v[246:247], s[20:21], v[2:3]
	v_fma_f64 v[98:99], v[238:239], s[34:35], v[222:223]
	;; [unrolled: 1-line block ×5, first 2 shown]
	v_add_f64 v[180:181], v[84:85], v[170:171]
	v_add_f64 v[122:123], v[162:163], v[210:211]
	v_fma_f64 v[70:71], v[238:239], s[12:13], v[108:109]
	v_fma_f64 v[84:85], v[238:239], s[12:13], -v[108:109]
	v_fma_f64 v[108:109], v[246:247], s[52:53], v[224:225]
	v_fma_f64 v[170:171], v[246:247], s[44:45], v[224:225]
	;; [unrolled: 1-line block ×3, first 2 shown]
	v_fma_f64 v[210:211], v[238:239], s[0:1], -v[190:191]
	v_fma_f64 v[206:207], v[238:239], s[24:25], v[174:175]
	v_fma_f64 v[202:203], v[238:239], s[24:25], -v[174:175]
	v_fma_f64 v[200:201], v[238:239], s[10:11], v[226:227]
	v_add_f64 v[190:191], v[132:133], -v[104:105]
	v_fma_f64 v[224:225], v[238:239], s[10:11], -v[226:227]
	v_add_f64 v[238:239], v[112:113], v[12:13]
	v_fma_f64 v[204:205], v[246:247], s[38:39], v[176:177]
	v_fma_f64 v[198:199], v[246:247], s[26:27], v[176:177]
	;; [unrolled: 1-line block ×4, first 2 shown]
	v_add_f64 v[132:133], v[130:131], v[128:129]
	v_add_f64 v[162:163], v[130:131], -v[128:129]
	v_mul_f64 v[232:233], v[160:161], s[12:13]
	v_mul_f64 v[244:245], v[160:161], s[24:25]
	v_add_f64 v[248:249], v[196:197], v[88:89]
	v_add_f64 v[246:247], v[194:195], v[8:9]
	v_mul_f64 v[236:237], v[160:161], s[34:35]
	v_mul_f64 v[194:195], v[158:159], s[42:43]
	;; [unrolled: 1-line block ×3, first 2 shown]
	v_add_f64 v[168:169], v[80:81], v[250:251]
	v_add_f64 v[172:173], v[86:87], v[6:7]
	;; [unrolled: 1-line block ×3, first 2 shown]
	v_fma_f64 v[86:87], v[192:193], s[12:13], v[230:231]
	v_fma_f64 v[6:7], v[192:193], s[24:25], v[242:243]
	v_fma_f64 v[80:81], v[192:193], s[24:25], -v[242:243]
	scratch_load_b64 v[242:243], off, off offset:1728 ; 8-byte Folded Reload
	v_add_f64 v[188:189], v[68:69], v[188:189]
	v_add_f64 v[174:175], v[98:99], v[218:219]
	;; [unrolled: 1-line block ×5, first 2 shown]
	v_mul_f64 v[142:143], v[158:159], s[36:37]
	v_add_f64 v[166:167], v[70:71], v[240:241]
	v_add_f64 v[68:69], v[84:85], v[4:5]
	;; [unrolled: 1-line block ×7, first 2 shown]
	v_fma_f64 v[214:215], v[192:193], s[12:13], -v[230:231]
	s_clause 0x1
	scratch_load_b64 v[230:231], off, off offset:1624
	scratch_load_b64 v[253:254], off, off offset:1680
	v_add_f64 v[240:241], v[114:115], v[46:47]
	v_add_f64 v[130:131], v[170:171], v[164:165]
	;; [unrolled: 1-line block ×3, first 2 shown]
	v_mul_f64 v[154:155], v[160:161], s[16:17]
	v_mul_f64 v[156:157], v[158:159], s[22:23]
	;; [unrolled: 1-line block ×4, first 2 shown]
	v_add_f64 v[152:153], v[208:209], v[152:153]
	v_mul_f64 v[208:209], v[160:161], s[14:15]
	v_mul_f64 v[158:159], v[158:159], s[18:19]
	;; [unrolled: 1-line block ×3, first 2 shown]
	v_add_f64 v[118:119], v[204:205], v[118:119]
	v_fma_f64 v[204:205], v[192:193], s[34:35], v[234:235]
	v_add_f64 v[126:127], v[202:203], v[126:127]
	v_fma_f64 v[218:219], v[192:193], s[34:35], -v[234:235]
	v_add_f64 v[120:121], v[198:199], v[120:121]
	v_add_f64 v[124:125], v[200:201], v[124:125]
	;; [unrolled: 1-line block ×4, first 2 shown]
	v_mul_f64 v[226:227], v[162:163], s[52:53]
	v_mul_f64 v[64:65], v[132:133], s[34:35]
	v_add_f64 v[134:135], v[228:229], v[134:135]
	v_fma_f64 v[206:207], v[190:191], s[46:47], v[232:233]
	v_fma_f64 v[216:217], v[190:191], s[40:41], v[232:233]
	scratch_load_b64 v[232:233], off, off offset:1696 ; 8-byte Folded Reload
	v_fma_f64 v[72:73], v[190:191], s[38:39], v[244:245]
	v_fma_f64 v[84:85], v[190:191], s[26:27], v[244:245]
	v_add_f64 v[108:109], v[248:249], v[66:67]
	s_clause 0x1
	scratch_load_b64 v[244:245], off, off offset:1584
	scratch_load_b64 v[248:249], off, off offset:1600
	v_add_f64 v[98:99], v[246:247], v[76:77]
	v_fma_f64 v[202:203], v[190:191], s[52:53], v[236:237]
	v_fma_f64 v[220:221], v[190:191], s[44:45], v[236:237]
	v_add_f64 v[6:7], v[6:7], v[178:179]
	v_fma_f64 v[178:179], v[190:191], s[30:31], v[196:197]
	v_add_f64 v[80:81], v[80:81], v[182:183]
	v_add_f64 v[86:87], v[86:87], v[186:187]
	v_fma_f64 v[182:183], v[190:191], s[42:43], v[196:197]
	v_add_f64 v[116:117], v[214:215], v[116:117]
	v_mul_f64 v[214:215], v[162:163], s[18:19]
	s_clause 0x1
	scratch_load_b64 v[246:247], off, off offset:1568
	scratch_load_b64 v[250:251], off, off offset:1576
	v_fma_f64 v[186:187], v[190:191], s[50:51], v[154:155]
	v_fma_f64 v[154:155], v[190:191], s[36:37], v[154:155]
	;; [unrolled: 1-line block ×6, first 2 shown]
	v_fma_f64 v[170:171], v[192:193], s[14:15], -v[170:171]
	v_fma_f64 v[208:209], v[190:191], s[28:29], v[208:209]
	v_fma_f64 v[222:223], v[192:193], s[8:9], v[158:159]
	;; [unrolled: 1-line block ×3, first 2 shown]
	v_fma_f64 v[158:159], v[192:193], s[8:9], -v[158:159]
	v_fma_f64 v[160:161], v[190:191], s[18:19], v[160:161]
	v_add_f64 v[190:191], v[90:91], v[66:67]
	v_mul_f64 v[90:91], v[162:163], s[48:49]
	v_add_f64 v[166:167], v[204:205], v[166:167]
	v_mul_f64 v[204:205], v[162:163], s[40:41]
	;; [unrolled: 2-line block ×3, first 2 shown]
	v_add_f64 v[66:67], v[78:79], -v[76:77]
	v_add_f64 v[122:123], v[206:207], v[122:123]
	v_mul_f64 v[206:207], v[132:133], s[10:11]
	v_add_f64 v[72:73], v[72:73], v[180:181]
	v_add_f64 v[84:85], v[84:85], v[184:185]
	;; [unrolled: 1-line block ×3, first 2 shown]
	v_fma_f64 v[128:129], v[192:193], s[0:1], v[194:195]
	v_fma_f64 v[180:181], v[192:193], s[0:1], -v[194:195]
	v_add_f64 v[98:99], v[98:99], v[48:49]
	v_fma_f64 v[184:185], v[192:193], s[16:17], v[142:143]
	v_fma_f64 v[142:143], v[192:193], s[16:17], -v[142:143]
	v_fma_f64 v[194:195], v[192:193], s[10:11], v[156:157]
	v_fma_f64 v[156:157], v[192:193], s[10:11], -v[156:157]
	v_add_f64 v[192:193], v[74:75], v[48:49]
	v_add_f64 v[48:49], v[74:75], -v[48:49]
	v_add_f64 v[188:189], v[216:217], v[188:189]
	v_mul_f64 v[216:217], v[132:133], s[8:9]
	v_add_f64 v[168:169], v[202:203], v[168:169]
	v_mul_f64 v[202:203], v[132:133], s[12:13]
	v_add_f64 v[172:173], v[220:221], v[172:173]
	v_mul_f64 v[220:221], v[132:133], s[24:25]
	v_add_f64 v[176:177], v[178:179], v[176:177]
	v_mul_f64 v[178:179], v[132:133], s[0:1]
	v_add_f64 v[130:131], v[182:183], v[130:131]
	v_add_f64 v[2:3], v[186:187], v[2:3]
	;; [unrolled: 1-line block ×7, first 2 shown]
	v_mul_f64 v[222:223], v[62:63], s[44:45]
	v_add_f64 v[134:135], v[224:225], v[134:135]
	v_mul_f64 v[74:75], v[190:191], s[14:15]
	v_mul_f64 v[224:225], v[190:191], s[0:1]
	v_add_f64 v[136:137], v[158:159], v[136:137]
	v_mul_f64 v[158:159], v[62:63], s[22:23]
	v_add_f64 v[138:139], v[160:161], v[138:139]
	v_mul_f64 v[160:161], v[190:191], s[10:11]
	scratch_load_b64 v[228:229], off, off offset:1408 ; 8-byte Folded Reload
	v_add_f64 v[106:107], v[108:109], v[106:107]
	v_mul_f64 v[108:109], v[132:133], s[16:17]
	v_add_f64 v[128:129], v[128:129], v[174:175]
	v_add_f64 v[98:99], v[98:99], v[104:105]
	v_mul_f64 v[104:105], v[162:163], s[36:37]
	v_mul_f64 v[174:175], v[162:163], s[30:31]
	;; [unrolled: 1-line block ×4, first 2 shown]
	v_add_f64 v[4:5], v[180:181], v[4:5]
	v_fma_f64 v[180:181], v[192:193], s[34:35], v[226:227]
	v_fma_f64 v[182:183], v[48:49], s[44:45], v[64:65]
	;; [unrolled: 1-line block ×3, first 2 shown]
	v_add_f64 v[70:71], v[184:185], v[70:71]
	v_fma_f64 v[184:185], v[192:193], s[10:11], v[90:91]
	v_add_f64 v[0:1], v[142:143], v[0:1]
	v_add_f64 v[142:143], v[154:155], v[144:145]
	;; [unrolled: 1-line block ×6, first 2 shown]
	v_fma_f64 v[90:91], v[192:193], s[10:11], -v[90:91]
	v_fma_f64 v[152:153], v[192:193], s[8:9], v[214:215]
	v_fma_f64 v[154:155], v[48:49], s[54:55], v[216:217]
	v_fma_f64 v[156:157], v[192:193], s[8:9], -v[214:215]
	v_fma_f64 v[164:165], v[48:49], s[18:19], v[216:217]
	v_fma_f64 v[194:195], v[192:193], s[12:13], v[204:205]
	;; [unrolled: 1-line block ×3, first 2 shown]
	v_fma_f64 v[198:199], v[192:193], s[12:13], -v[204:205]
	v_fma_f64 v[200:201], v[48:49], s[40:41], v[202:203]
	v_fma_f64 v[204:205], v[48:49], s[26:27], v[220:221]
	;; [unrolled: 1-line block ×5, first 2 shown]
	v_fma_f64 v[226:227], v[192:193], s[34:35], -v[226:227]
	v_fma_f64 v[202:203], v[192:193], s[24:25], v[218:219]
	v_fma_f64 v[12:13], v[66:67], s[20:21], v[74:75]
	v_add_f64 v[96:97], v[106:107], v[96:97]
	v_fma_f64 v[106:107], v[48:49], s[48:49], v[206:207]
	v_fma_f64 v[186:187], v[48:49], s[50:51], v[108:109]
	v_add_f64 v[94:95], v[98:99], v[94:95]
	v_fma_f64 v[98:99], v[48:49], s[22:23], v[206:207]
	v_fma_f64 v[170:171], v[192:193], s[16:17], v[104:105]
	v_fma_f64 v[104:105], v[192:193], s[16:17], -v[104:105]
	v_fma_f64 v[108:109], v[48:49], s[36:37], v[108:109]
	v_fma_f64 v[206:207], v[192:193], s[24:25], -v[218:219]
	v_fma_f64 v[214:215], v[192:193], s[0:1], v[174:175]
	v_fma_f64 v[220:221], v[48:49], s[28:29], v[132:133]
	;; [unrolled: 1-line block ×3, first 2 shown]
	v_add_f64 v[132:133], v[78:79], v[76:77]
	v_fma_f64 v[174:175], v[192:193], s[0:1], -v[174:175]
	v_fma_f64 v[218:219], v[192:193], s[14:15], v[162:163]
	v_fma_f64 v[162:163], v[192:193], s[14:15], -v[162:163]
	v_mul_f64 v[192:193], v[62:63], s[20:21]
	v_add_f64 v[6:7], v[180:181], v[6:7]
	v_mul_f64 v[180:181], v[62:63], s[38:39]
	v_add_f64 v[72:73], v[182:183], v[72:73]
	;; [unrolled: 2-line block ×3, first 2 shown]
	v_fma_f64 v[84:85], v[66:67], s[28:29], v[74:75]
	v_add_f64 v[86:87], v[184:185], v[86:87]
	v_add_f64 v[90:91], v[90:91], v[116:117]
	;; [unrolled: 1-line block ×5, first 2 shown]
	v_mul_f64 v[78:79], v[62:63], s[54:55]
	v_mul_f64 v[164:165], v[62:63], s[40:41]
	v_add_f64 v[74:75], v[208:209], v[150:151]
	v_add_f64 v[68:69], v[156:157], v[68:69]
	;; [unrolled: 1-line block ×6, first 2 shown]
	v_fma_f64 v[178:179], v[66:67], s[48:49], v[160:161]
	v_add_f64 v[144:145], v[202:203], v[144:145]
	v_add_f64 v[82:83], v[96:97], v[82:83]
	v_mul_f64 v[96:97], v[62:63], s[30:31]
	v_add_f64 v[106:107], v[106:107], v[188:189]
	v_add_f64 v[92:93], v[94:95], v[92:93]
	v_mul_f64 v[94:95], v[190:191], s[34:35]
	v_add_f64 v[98:99], v[98:99], v[122:123]
	v_add_f64 v[122:123], v[154:155], v[168:169]
	;; [unrolled: 1-line block ×7, first 2 shown]
	v_mul_f64 v[176:177], v[190:191], s[12:13]
	v_add_f64 v[128:129], v[170:171], v[128:129]
	v_fma_f64 v[156:157], v[132:133], s[34:35], -v[222:223]
	v_add_f64 v[126:127], v[174:175], v[126:127]
	v_fma_f64 v[226:227], v[132:133], s[14:15], v[192:193]
	v_fma_f64 v[168:169], v[66:67], s[42:43], v[224:225]
	;; [unrolled: 1-line block ×3, first 2 shown]
	v_add_f64 v[136:137], v[162:163], v[136:137]
	v_fma_f64 v[162:163], v[132:133], s[10:11], v[158:159]
	v_add_f64 v[48:49], v[48:49], v[138:139]
	v_fma_f64 v[138:139], v[132:133], s[10:11], -v[158:159]
	v_add_f64 v[72:73], v[84:85], v[72:73]
	v_mul_f64 v[62:63], v[62:63], s[50:51]
	v_fma_f64 v[84:85], v[66:67], s[22:23], v[160:161]
	v_fma_f64 v[158:159], v[132:133], s[24:25], v[180:181]
	v_mul_f64 v[160:161], v[190:191], s[16:17]
	v_fma_f64 v[184:185], v[66:67], s[26:27], v[182:183]
	v_add_f64 v[12:13], v[12:13], v[64:65]
	v_fma_f64 v[64:65], v[132:133], s[24:25], -v[180:181]
	v_fma_f64 v[180:181], v[66:67], s[38:39], v[182:183]
	v_add_f64 v[182:183], v[18:19], v[8:9]
	v_mul_f64 v[186:187], v[76:77], s[10:11]
	v_fma_f64 v[188:189], v[132:133], s[8:9], v[78:79]
	v_fma_f64 v[78:79], v[132:133], s[8:9], -v[78:79]
	v_fma_f64 v[192:193], v[132:133], s[14:15], -v[192:193]
	v_add_f64 v[124:125], v[218:219], v[124:125]
	v_add_f64 v[2:3], v[82:83], v[28:29]
	;; [unrolled: 1-line block ×6, first 2 shown]
	v_add_f64 v[118:119], v[110:111], -v[88:89]
	v_mul_f64 v[140:141], v[190:191], s[8:9]
	v_fma_f64 v[148:149], v[132:133], s[34:35], v[222:223]
	v_fma_f64 v[150:151], v[66:67], s[52:53], v[94:95]
	;; [unrolled: 1-line block ×4, first 2 shown]
	v_fma_f64 v[96:97], v[132:133], s[0:1], -v[96:97]
	v_add_f64 v[88:89], v[18:19], -v[8:9]
	v_add_f64 v[154:155], v[178:179], v[154:155]
	v_add_f64 v[90:91], v[156:157], v[90:91]
	scratch_load_b64 v[18:19], off, off offset:1424 ; 8-byte Folded Reload
	v_add_f64 v[6:7], v[226:227], v[6:7]
	v_add_f64 v[122:123], v[168:169], v[122:123]
	v_mul_f64 v[168:169], v[76:77], s[24:25]
	scratch_load_b64 v[8:9], off, off offset:1392 ; 8-byte Folded Reload
	v_add_f64 v[128:129], v[162:163], v[128:129]
	v_add_f64 v[146:147], v[204:205], v[146:147]
	;; [unrolled: 1-line block ×3, first 2 shown]
	v_fma_f64 v[138:139], v[66:67], s[40:41], v[176:177]
	v_add_f64 v[134:135], v[220:221], v[134:135]
	v_add_f64 v[84:85], v[84:85], v[104:105]
	;; [unrolled: 1-line block ×3, first 2 shown]
	v_fma_f64 v[158:159], v[66:67], s[36:37], v[160:161]
	v_add_f64 v[108:109], v[184:185], v[108:109]
	v_add_f64 v[64:65], v[64:65], v[130:131]
	;; [unrolled: 1-line block ×3, first 2 shown]
	v_mul_f64 v[180:181], v[76:77], s[12:13]
	v_add_f64 v[144:145], v[188:189], v[144:145]
	v_add_f64 v[80:81], v[192:193], v[80:81]
	;; [unrolled: 1-line block ×3, first 2 shown]
	v_mul_f64 v[110:111], v[118:119], s[22:23]
	v_fma_f64 v[190:191], v[66:67], s[18:19], v[140:141]
	v_add_f64 v[86:87], v[148:149], v[86:87]
	v_add_f64 v[98:99], v[150:151], v[98:99]
	;; [unrolled: 1-line block ×3, first 2 shown]
	v_mul_f64 v[106:107], v[118:119], s[50:51]
	v_fma_f64 v[140:141], v[66:67], s[54:55], v[140:141]
	v_fma_f64 v[148:149], v[132:133], s[12:13], v[164:165]
	v_add_f64 v[116:117], v[166:167], v[116:117]
	v_mul_f64 v[150:151], v[76:77], s[16:17]
	v_fma_f64 v[166:167], v[66:67], s[46:47], v[176:177]
	v_add_f64 v[68:69], v[96:97], v[68:69]
	v_add_f64 v[96:97], v[170:171], v[152:153]
	v_fma_f64 v[164:165], v[132:133], s[12:13], -v[164:165]
	v_fma_f64 v[170:171], v[132:133], s[16:17], v[62:63]
	v_mul_f64 v[104:105], v[118:119], s[28:29]
	v_fma_f64 v[62:63], v[132:133], s[16:17], -v[62:63]
	v_fma_f64 v[66:67], v[66:67], s[50:51], v[160:161]
	v_fma_f64 v[142:143], v[88:89], s[48:49], v[186:187]
	v_mul_f64 v[160:161], v[118:119], s[30:31]
	v_fma_f64 v[176:177], v[88:89], s[22:23], v[186:187]
	v_mul_f64 v[162:163], v[118:119], s[26:27]
	v_fma_f64 v[184:185], v[88:89], s[38:39], v[168:169]
	v_add_f64 v[138:139], v[138:139], v[120:121]
	v_fma_f64 v[168:169], v[88:89], s[26:27], v[168:169]
	v_add_f64 v[120:121], v[38:39], v[36:37]
	v_add_f64 v[158:159], v[158:159], v[134:135]
	v_mul_f64 v[134:135], v[76:77], s[8:9]
	v_fma_f64 v[132:133], v[182:183], s[10:11], v[110:111]
	v_fma_f64 v[110:111], v[182:183], s[10:11], -v[110:111]
	v_add_f64 v[146:147], v[190:191], v[146:147]
	v_fma_f64 v[178:179], v[182:183], s[16:17], v[106:107]
	v_add_f64 v[74:75], v[140:141], v[74:75]
	v_add_f64 v[78:79], v[148:149], v[82:83]
	v_add_f64 v[82:83], v[32:33], -v[10:11]
	v_fma_f64 v[140:141], v[88:89], s[36:37], v[150:151]
	v_mul_f64 v[148:149], v[118:119], s[40:41]
	v_add_f64 v[166:167], v[166:167], v[92:93]
	v_add_f64 v[92:93], v[32:33], v[10:11]
	scratch_load_b64 v[10:11], off, off offset:8 ; 8-byte Folded Reload
	v_add_f64 v[170:171], v[170:171], v[124:125]
	v_mul_f64 v[124:125], v[118:119], s[18:19]
	v_fma_f64 v[186:187], v[182:183], s[14:15], v[104:105]
	v_fma_f64 v[104:105], v[182:183], s[14:15], -v[104:105]
	v_add_f64 v[62:63], v[62:63], v[136:137]
	v_add_f64 v[48:49], v[66:67], v[48:49]
	;; [unrolled: 1-line block ×3, first 2 shown]
	v_mul_f64 v[66:67], v[118:119], s[52:53]
	v_add_f64 v[12:13], v[176:177], v[12:13]
	v_add_f64 v[142:143], v[38:39], -v[36:37]
	v_add_f64 v[96:97], v[168:169], v[96:97]
	v_add_f64 v[164:165], v[164:165], v[126:127]
	v_fma_f64 v[126:127], v[88:89], s[50:51], v[150:151]
	v_fma_f64 v[150:151], v[182:183], s[24:25], v[162:163]
	v_fma_f64 v[162:163], v[182:183], s[24:25], -v[162:163]
	v_fma_f64 v[106:107], v[182:183], s[16:17], -v[106:107]
	v_add_f64 v[184:185], v[184:185], v[122:123]
	s_waitcnt vmcnt(11)
	v_add_f64 v[210:211], v[238:239], v[242:243]
	scratch_load_b64 v[238:239], off, off offset:1744 ; 8-byte Folded Reload
	v_add_f64 v[6:7], v[132:133], v[6:7]
	v_add_f64 v[80:81], v[110:111], v[80:81]
	v_fma_f64 v[110:111], v[182:183], s[0:1], v[160:161]
	v_add_f64 v[176:177], v[178:179], v[86:87]
	v_fma_f64 v[86:87], v[182:183], s[0:1], -v[160:161]
	v_fma_f64 v[160:161], v[88:89], s[46:47], v[180:181]
	v_mul_f64 v[136:137], v[82:83], s[40:41]
	v_add_f64 v[98:99], v[140:141], v[98:99]
	v_fma_f64 v[140:141], v[182:183], s[12:13], v[148:149]
	v_fma_f64 v[148:149], v[182:183], s[12:13], -v[148:149]
	v_mul_f64 v[190:191], v[92:93], s[10:11]
	v_mul_f64 v[200:201], v[92:93], s[34:35]
	v_fma_f64 v[122:123], v[182:183], s[8:9], v[124:125]
	v_add_f64 v[168:169], v[186:187], v[128:129]
	v_add_f64 v[4:5], v[104:105], v[4:5]
	v_fma_f64 v[186:187], v[182:183], s[8:9], -v[124:125]
	v_fma_f64 v[192:193], v[182:183], s[34:35], v[66:67]
	v_fma_f64 v[66:67], v[182:183], s[34:35], -v[66:67]
	v_add_f64 v[94:95], v[126:127], v[94:95]
	v_add_f64 v[178:179], v[150:151], v[116:117]
	;; [unrolled: 1-line block ×3, first 2 shown]
	v_mul_f64 v[68:69], v[82:83], s[42:43]
	v_fma_f64 v[116:117], v[88:89], s[40:41], v[180:181]
	v_fma_f64 v[180:181], v[88:89], s[54:55], v[134:135]
	v_add_f64 v[90:91], v[106:107], v[90:91]
	v_mul_f64 v[150:151], v[92:93], s[0:1]
	v_add_f64 v[210:211], v[210:211], v[24:25]
	v_add_f64 v[182:183], v[110:111], v[70:71]
	v_mul_f64 v[110:111], v[92:93], s[14:15]
	v_mul_f64 v[70:71], v[82:83], s[18:19]
	v_add_f64 v[104:105], v[86:87], v[64:65]
	scratch_load_b64 v[64:65], off, off offset:1376 ; 8-byte Folded Reload
	v_fma_f64 v[86:87], v[120:121], s[12:13], v[136:137]
	v_add_f64 v[126:127], v[160:161], v[146:147]
	v_add_f64 v[124:125], v[140:141], v[144:145]
	;; [unrolled: 1-line block ×3, first 2 shown]
	v_mul_f64 v[160:161], v[92:93], s[16:17]
	v_fma_f64 v[198:199], v[120:121], s[0:1], v[68:69]
	v_add_f64 v[210:211], v[210:211], v[16:17]
	v_dual_mov_b32 v16, v22 :: v_dual_mov_b32 v17, v23
	s_delay_alu instid0(VALU_DEP_2) | instskip(NEXT) | instid1(VALU_DEP_1)
	v_add_f64 v[210:211], v[210:211], v[22:23]
	v_add_f64 v[210:211], v[210:211], v[30:31]
	s_waitcnt vmcnt(11)
	s_delay_alu instid0(VALU_DEP_1) | instskip(SKIP_1) | instid1(VALU_DEP_1)
	v_add_f64 v[172:173], v[210:211], v[253:254]
	s_waitcnt vmcnt(9)
	v_add_f64 v[152:153], v[172:173], v[244:245]
	v_mul_f64 v[172:173], v[76:77], s[14:15]
	s_delay_alu instid0(VALU_DEP_1) | instskip(SKIP_4) | instid1(VALU_DEP_4)
	v_fma_f64 v[188:189], v[88:89], s[20:21], v[172:173]
	v_fma_f64 v[172:173], v[88:89], s[28:29], v[172:173]
	s_waitcnt vmcnt(2)
	v_add_f64 v[144:145], v[46:47], -v[10:11]
	v_add_f64 v[148:149], v[46:47], v[10:11]
	v_add_f64 v[154:155], v[188:189], v[154:155]
	v_fma_f64 v[188:189], v[88:89], s[18:19], v[134:135]
	v_add_f64 v[172:173], v[172:173], v[84:85]
	v_mul_f64 v[84:85], v[82:83], s[22:23]
	v_add_f64 v[134:135], v[180:181], v[166:167]
	v_fma_f64 v[166:167], v[142:143], s[42:43], v[150:151]
	s_waitcnt vmcnt(1)
	v_add_f64 v[212:213], v[240:241], v[238:239]
	v_add_f64 v[138:139], v[188:189], v[138:139]
	v_fma_f64 v[180:181], v[120:121], s[10:11], v[84:85]
	s_delay_alu instid0(VALU_DEP_3) | instskip(NEXT) | instid1(VALU_DEP_1)
	v_add_f64 v[212:213], v[212:213], v[230:231]
	v_add_f64 v[212:213], v[212:213], v[14:15]
	v_fma_f64 v[14:15], v[120:121], s[0:1], -v[68:69]
	s_delay_alu instid0(VALU_DEP_2) | instskip(SKIP_1) | instid1(VALU_DEP_2)
	v_add_f64 v[212:213], v[212:213], v[20:21]
	v_add_f64 v[20:21], v[86:87], v[6:7]
	;; [unrolled: 1-line block ×3, first 2 shown]
	s_delay_alu instid0(VALU_DEP_1) | instskip(NEXT) | instid1(VALU_DEP_1)
	v_add_f64 v[174:175], v[212:213], v[232:233]
	v_add_f64 v[156:157], v[174:175], v[248:249]
	v_mul_f64 v[174:175], v[76:77], s[0:1]
	v_mul_f64 v[76:77], v[76:77], s[34:35]
	s_delay_alu instid0(VALU_DEP_3) | instskip(NEXT) | instid1(VALU_DEP_3)
	v_add_f64 v[156:157], v[156:157], v[250:251]
	v_fma_f64 v[118:119], v[88:89], s[42:43], v[174:175]
	v_fma_f64 v[132:133], v[88:89], s[30:31], v[174:175]
	v_mul_f64 v[174:175], v[92:93], s[12:13]
	v_fma_f64 v[194:195], v[88:89], s[44:45], v[76:77]
	v_fma_f64 v[76:77], v[88:89], s[52:53], v[76:77]
	v_mul_f64 v[88:89], v[92:93], s[8:9]
	v_add_f64 v[196:197], v[118:119], v[108:109]
	v_add_f64 v[106:107], v[132:133], v[130:131]
	v_fma_f64 v[28:29], v[142:143], s[46:47], v[174:175]
	v_fma_f64 v[174:175], v[142:143], s[40:41], v[174:175]
	v_mul_f64 v[108:109], v[82:83], s[20:21]
	v_add_f64 v[130:131], v[116:117], v[74:75]
	v_mul_f64 v[74:75], v[82:83], s[52:53]
	v_add_f64 v[234:235], v[76:77], v[48:49]
	v_fma_f64 v[48:49], v[142:143], s[54:55], v[88:89]
	v_add_f64 v[132:133], v[122:123], v[78:79]
	v_add_f64 v[122:123], v[186:187], v[164:165]
	v_fma_f64 v[164:165], v[142:143], s[48:49], v[190:191]
	v_add_f64 v[116:117], v[194:195], v[158:159]
	v_fma_f64 v[158:159], v[142:143], s[22:23], v[190:191]
	v_fma_f64 v[190:191], v[142:143], s[28:29], v[110:111]
	;; [unrolled: 1-line block ×3, first 2 shown]
	v_fma_f64 v[186:187], v[120:121], s[8:9], -v[70:71]
	v_add_f64 v[118:119], v[192:193], v[170:171]
	v_add_f64 v[76:77], v[14:15], v[90:91]
	v_fma_f64 v[78:79], v[142:143], s[30:31], v[150:151]
	v_fma_f64 v[170:171], v[120:121], s[8:9], v[70:71]
	;; [unrolled: 1-line block ×3, first 2 shown]
	s_waitcnt vmcnt(0)
	v_add_f64 v[150:151], v[34:35], -v[64:65]
	v_add_f64 v[22:23], v[28:29], v[72:73]
	scratch_store_b128 off, v[0:3], off offset:1328 ; 16-byte Folded Spill
	scratch_load_b64 v[0:1], off, off offset:1440 ; 8-byte Folded Reload
	v_add_f64 v[152:153], v[152:153], v[246:247]
	v_add_f64 v[2:3], v[66:67], v[62:63]
	;; [unrolled: 1-line block ×3, first 2 shown]
	v_fma_f64 v[6:7], v[120:121], s[14:15], v[108:109]
	v_fma_f64 v[192:193], v[120:121], s[14:15], -v[108:109]
	v_fma_f64 v[14:15], v[120:121], s[34:35], -v[74:75]
	scratch_store_b64 off, v[26:27], off offset:1672 ; 8-byte Folded Spill
	v_add_f64 v[68:69], v[164:165], v[184:185]
	v_add_f64 v[90:91], v[158:159], v[96:97]
	v_mul_f64 v[96:97], v[92:93], s[24:25]
	v_mul_f64 v[164:165], v[144:145], s[54:55]
	v_add_f64 v[92:93], v[186:187], v[4:5]
	v_fma_f64 v[62:63], v[120:121], s[10:11], -v[84:85]
	v_add_f64 v[84:85], v[198:199], v[176:177]
	v_add_f64 v[86:87], v[78:79], v[98:99]
	v_mul_f64 v[98:99], v[82:83], s[38:39]
	v_add_f64 v[72:73], v[170:171], v[168:169]
	v_mul_f64 v[170:171], v[144:145], s[20:21]
	v_fma_f64 v[174:175], v[142:143], s[44:45], v[200:201]
	v_add_f64 v[78:79], v[166:167], v[94:95]
	v_add_f64 v[66:67], v[180:181], v[178:179]
	v_mul_f64 v[166:167], v[148:149], s[8:9]
	v_add_f64 v[94:95], v[188:189], v[172:173]
	v_mul_f64 v[4:5], v[144:145], s[36:37]
	v_mul_f64 v[168:169], v[148:149], s[24:25]
	;; [unrolled: 1-line block ×5, first 2 shown]
	v_add_f64 v[106:107], v[194:195], v[106:107]
	v_add_f64 v[26:27], v[30:31], -v[8:9]
	scratch_store_b128 off, v[20:23], off offset:1360 ; 16-byte Folded Spill
	v_fma_f64 v[20:21], v[142:143], s[52:53], v[200:201]
	v_add_f64 v[152:153], v[152:153], v[18:19]
	scratch_store_b64 off, v[2:3], off offset:1344 ; 8-byte Folded Spill
	v_dual_mov_b32 v2, v238 :: v_dual_mov_b32 v3, v239
	v_add_f64 v[104:105], v[192:193], v[104:105]
	s_delay_alu instid0(VALU_DEP_2)
	v_add_f64 v[22:23], v[2:3], v[56:57]
	v_add_f64 v[88:89], v[62:63], v[162:163]
	v_mul_f64 v[162:163], v[144:145], s[26:27]
	v_fma_f64 v[62:63], v[120:121], s[24:25], -v[98:99]
	v_add_f64 v[134:135], v[174:175], v[134:135]
	v_fma_f64 v[174:175], v[150:151], s[18:19], v[166:167]
	v_fma_f64 v[180:181], v[150:151], s[38:39], v[168:169]
	;; [unrolled: 1-line block ×7, first 2 shown]
	v_add_f64 v[138:139], v[20:21], v[138:139]
	v_add_f64 v[140:141], v[152:153], v[8:9]
	v_fma_f64 v[152:153], v[120:121], s[12:13], -v[136:137]
	v_mul_f64 v[136:137], v[144:145], s[30:31]
	v_mul_f64 v[216:217], v[22:23], s[12:13]
	v_mul_f64 v[222:223], v[22:23], s[10:11]
	v_mul_f64 v[236:237], v[22:23], s[34:35]
	v_add_f64 v[174:175], v[114:115], v[174:175]
	v_add_f64 v[180:181], v[114:115], v[180:181]
	;; [unrolled: 1-line block ×9, first 2 shown]
	v_fma_f64 v[152:153], v[142:143], s[36:37], v[160:161]
	v_mul_f64 v[140:141], v[148:149], s[0:1]
	v_add_f64 v[80:81], v[6:7], v[182:183]
	v_add_f64 v[6:7], v[202:203], v[50:51]
	v_mul_f64 v[202:203], v[22:23], s[24:25]
	v_add_f64 v[126:127], v[152:153], v[126:127]
	v_mul_f64 v[152:153], v[148:149], s[34:35]
	s_delay_alu instid0(VALU_DEP_4) | instskip(NEXT) | instid1(VALU_DEP_2)
	v_add_f64 v[6:7], v[6:7], v[54:55]
	v_fma_f64 v[184:185], v[150:151], s[44:45], v[152:153]
	v_fma_f64 v[152:153], v[150:151], s[52:53], v[152:153]
	s_delay_alu instid0(VALU_DEP_2) | instskip(NEXT) | instid1(VALU_DEP_2)
	v_add_f64 v[184:185], v[114:115], v[184:185]
	v_add_f64 v[152:153], v[114:115], v[152:153]
	s_waitcnt vmcnt(0)
	v_add_f64 v[156:157], v[156:157], v[0:1]
	s_delay_alu instid0(VALU_DEP_1) | instskip(SKIP_3) | instid1(VALU_DEP_4)
	v_add_f64 v[146:147], v[156:157], v[228:229]
	v_mul_f64 v[156:157], v[82:83], s[50:51]
	v_add_f64 v[82:83], v[190:191], v[196:197]
	v_mul_f64 v[190:191], v[22:23], s[8:9]
	v_add_f64 v[204:205], v[146:147], v[44:45]
	s_delay_alu instid0(VALU_DEP_4)
	v_fma_f64 v[12:13], v[120:121], s[16:17], -v[156:157]
	v_fma_f64 v[28:29], v[120:121], s[16:17], v[156:157]
	v_fma_f64 v[156:157], v[142:143], s[50:51], v[160:161]
	;; [unrolled: 1-line block ×3, first 2 shown]
	v_add_f64 v[74:75], v[48:49], v[154:155]
	v_add_f64 v[146:147], v[34:35], v[64:65]
	v_mul_f64 v[48:49], v[148:149], s[16:17]
	v_mul_f64 v[148:149], v[148:149], s[12:13]
	v_add_f64 v[154:155], v[204:205], v[52:53]
	v_add_f64 v[128:129], v[12:13], v[128:129]
	v_add_f64 v[12:13], v[2:3], -v[56:57]
	v_dual_mov_b32 v2, v242 :: v_dual_mov_b32 v3, v243
	v_add_f64 v[124:125], v[28:29], v[124:125]
	v_fma_f64 v[20:21], v[146:147], s[8:9], v[164:165]
	v_fma_f64 v[164:165], v[146:147], s[8:9], -v[164:165]
	v_fma_f64 v[192:193], v[146:147], s[14:15], v[170:171]
	v_fma_f64 v[158:159], v[146:147], s[0:1], v[136:137]
	v_mul_f64 v[28:29], v[144:145], s[52:53]
	v_add_f64 v[130:131], v[156:157], v[130:131]
	v_add_f64 v[132:133], v[160:161], v[132:133]
	v_fma_f64 v[156:157], v[150:151], s[42:43], v[140:141]
	v_fma_f64 v[160:161], v[146:147], s[0:1], -v[136:137]
	v_add_f64 v[136:137], v[14:15], v[122:123]
	v_fma_f64 v[14:15], v[150:151], s[30:31], v[140:141]
	v_fma_f64 v[122:123], v[120:121], s[24:25], v[98:99]
	v_fma_f64 v[140:141], v[142:143], s[26:27], v[96:97]
	v_fma_f64 v[120:121], v[142:143], s[38:39], v[96:97]
	v_fma_f64 v[142:143], v[150:151], s[50:51], v[48:49]
	v_mul_f64 v[144:145], v[144:145], s[40:41]
	v_fma_f64 v[48:49], v[150:151], s[36:37], v[48:49]
	v_fma_f64 v[98:99], v[150:151], s[54:55], v[166:167]
	;; [unrolled: 1-line block ×3, first 2 shown]
	v_fma_f64 v[4:5], v[146:147], s[16:17], -v[4:5]
	v_fma_f64 v[166:167], v[146:147], s[24:25], v[162:163]
	v_fma_f64 v[162:163], v[146:147], s[24:25], -v[162:163]
	v_fma_f64 v[170:171], v[146:147], s[14:15], -v[170:171]
	v_fma_f64 v[198:199], v[146:147], s[10:11], v[176:177]
	v_fma_f64 v[176:177], v[146:147], s[10:11], -v[176:177]
	v_fma_f64 v[206:207], v[150:151], s[46:47], v[148:149]
	v_mul_f64 v[242:243], v[22:23], s[16:17]
	v_add_f64 v[186:187], v[2:3], v[58:59]
	v_add_f64 v[36:37], v[2:3], -v[58:59]
	v_dual_mov_b32 v2, v230 :: v_dual_mov_b32 v3, v231
	v_add_f64 v[154:155], v[154:155], v[60:61]
	v_mul_f64 v[196:197], v[12:13], s[26:27]
	s_delay_alu instid0(VALU_DEP_3)
	v_add_f64 v[224:225], v[2:3], -v[60:61]
	v_add_f64 v[60:61], v[2:3], v[60:61]
	scratch_load_b64 v[2:3], off, off offset:1712 ; 8-byte Folded Reload
	v_mul_f64 v[230:231], v[12:13], s[44:45]
	v_add_f64 v[164:165], v[112:113], v[164:165]
	v_add_f64 v[192:193], v[112:113], v[192:193]
	v_mul_f64 v[188:189], v[12:13], s[54:55]
	v_add_f64 v[158:159], v[112:113], v[158:159]
	v_fma_f64 v[182:183], v[146:147], s[34:35], v[28:29]
	v_fma_f64 v[28:29], v[146:147], s[34:35], -v[28:29]
	v_add_f64 v[156:157], v[114:115], v[156:157]
	v_add_f64 v[160:161], v[112:113], v[160:161]
	;; [unrolled: 1-line block ×4, first 2 shown]
	v_mul_f64 v[208:209], v[12:13], s[40:41]
	v_mul_f64 v[220:221], v[12:13], s[48:49]
	;; [unrolled: 1-line block ×3, first 2 shown]
	v_add_f64 v[142:143], v[114:115], v[142:143]
	v_fma_f64 v[204:205], v[146:147], s[12:13], v[144:145]
	v_fma_f64 v[144:145], v[146:147], s[12:13], -v[144:145]
	v_fma_f64 v[146:147], v[150:151], s[40:41], v[148:149]
	v_add_f64 v[148:149], v[114:115], v[48:49]
	v_mul_f64 v[48:49], v[12:13], s[20:21]
	v_mul_f64 v[150:151], v[22:23], s[14:15]
	v_add_f64 v[98:99], v[114:115], v[98:99]
	v_add_f64 v[96:97], v[112:113], v[96:97]
	;; [unrolled: 1-line block ×9, first 2 shown]
	v_mul_f64 v[12:13], v[12:13], s[42:43]
	v_mul_f64 v[22:23], v[22:23], s[0:1]
	v_fma_f64 v[214:215], v[36:37], s[18:19], v[190:191]
	v_fma_f64 v[190:191], v[36:37], s[54:55], v[190:191]
	;; [unrolled: 1-line block ×4, first 2 shown]
	v_fma_f64 v[196:197], v[186:187], s[24:25], -v[196:197]
	v_fma_f64 v[212:213], v[186:187], s[8:9], v[188:189]
	v_fma_f64 v[188:189], v[186:187], s[8:9], -v[188:189]
	v_add_f64 v[182:183], v[112:113], v[182:183]
	v_add_f64 v[210:211], v[112:113], v[28:29]
	;; [unrolled: 1-line block ×3, first 2 shown]
	v_fma_f64 v[58:59], v[186:187], s[12:13], v[208:209]
	v_add_f64 v[204:205], v[112:113], v[204:205]
	v_add_f64 v[112:113], v[112:113], v[144:145]
	;; [unrolled: 1-line block ×3, first 2 shown]
	v_fma_f64 v[144:145], v[36:37], s[26:27], v[202:203]
	v_fma_f64 v[146:147], v[186:187], s[14:15], v[48:49]
	;; [unrolled: 1-line block ×3, first 2 shown]
	v_fma_f64 v[238:239], v[186:187], s[14:15], -v[48:49]
	v_fma_f64 v[6:7], v[36:37], s[20:21], v[150:151]
	v_add_f64 v[48:49], v[154:155], v[56:57]
	v_fma_f64 v[154:155], v[36:37], s[46:47], v[216:217]
	v_add_f64 v[150:151], v[214:215], v[156:157]
	v_add_f64 v[14:15], v[190:191], v[14:15]
	v_fma_f64 v[190:191], v[36:37], s[22:23], v[222:223]
	v_mul_f64 v[214:215], v[224:225], s[36:37]
	v_add_f64 v[174:175], v[226:227], v[174:175]
	v_fma_f64 v[226:227], v[36:37], s[44:45], v[236:237]
	v_add_f64 v[164:165], v[196:197], v[164:165]
	v_fma_f64 v[196:197], v[186:187], s[34:35], v[230:231]
	v_add_f64 v[20:21], v[218:219], v[20:21]
	v_add_f64 v[56:57], v[212:213], v[158:159]
	v_add_f64 v[156:157], v[188:189], v[160:161]
	v_fma_f64 v[158:159], v[186:187], s[12:13], -v[208:209]
	v_fma_f64 v[160:161], v[36:37], s[40:41], v[216:217]
	v_fma_f64 v[188:189], v[186:187], s[10:11], v[220:221]
	v_fma_f64 v[208:209], v[186:187], s[10:11], -v[220:221]
	v_add_f64 v[212:213], v[24:25], v[54:55]
	v_add_f64 v[54:55], v[24:25], -v[54:55]
	v_mul_f64 v[218:219], v[60:61], s[16:17]
	v_fma_f64 v[216:217], v[36:37], s[48:49], v[222:223]
	v_fma_f64 v[220:221], v[36:37], s[52:53], v[236:237]
	v_mul_f64 v[236:237], v[60:61], s[14:15]
	v_add_f64 v[58:59], v[58:59], v[166:167]
	v_fma_f64 v[166:167], v[36:37], s[50:51], v[242:243]
	v_fma_f64 v[222:223], v[186:187], s[34:35], -v[230:231]
	v_add_f64 v[98:99], v[144:145], v[98:99]
	v_add_f64 v[96:97], v[146:147], v[96:97]
	v_fma_f64 v[146:147], v[36:37], s[36:37], v[242:243]
	v_fma_f64 v[144:145], v[186:187], s[16:17], v[240:241]
	v_add_f64 v[6:7], v[6:7], v[148:149]
	v_fma_f64 v[148:149], v[186:187], s[16:17], -v[240:241]
	v_add_f64 v[154:155], v[154:155], v[180:181]
	v_mul_f64 v[180:181], v[60:61], s[34:35]
	v_add_f64 v[142:143], v[202:203], v[142:143]
	v_add_f64 v[4:5], v[238:239], v[4:5]
	v_mul_f64 v[202:203], v[224:225], s[20:21]
	v_mul_f64 v[238:239], v[224:225], s[46:47]
	;; [unrolled: 1-line block ×3, first 2 shown]
	v_add_nc_u32_e32 v231, 0x330, v252
	v_add_nc_u32_e32 v230, 0x440, v252
	v_add_f64 v[24:25], v[232:233], v[0:1]
	v_add_f64 v[184:185], v[190:191], v[184:185]
	;; [unrolled: 1-line block ×3, first 2 shown]
	v_mul_f64 v[226:227], v[60:61], s[24:25]
	v_add_f64 v[192:193], v[196:197], v[192:193]
	v_add_f64 v[158:159], v[158:159], v[162:163]
	;; [unrolled: 1-line block ×3, first 2 shown]
	v_fma_f64 v[162:163], v[186:187], s[0:1], v[12:13]
	v_fma_f64 v[168:169], v[36:37], s[30:31], v[22:23]
	v_add_f64 v[182:183], v[188:189], v[182:183]
	v_add_f64 v[188:189], v[208:209], v[210:211]
	v_fma_f64 v[190:191], v[54:55], s[50:51], v[218:219]
	v_mul_f64 v[208:209], v[224:225], s[18:19]
	v_mul_f64 v[210:211], v[60:61], s[8:9]
	v_fma_f64 v[12:13], v[186:187], s[0:1], -v[12:13]
	v_fma_f64 v[22:23], v[36:37], s[42:43], v[22:23]
	v_mul_f64 v[36:37], v[224:225], s[44:45]
	v_fma_f64 v[186:187], v[212:213], s[16:17], v[214:215]
	v_add_f64 v[152:153], v[216:217], v[152:153]
	v_mul_f64 v[216:217], v[224:225], s[30:31]
	v_add_f64 v[194:195], v[220:221], v[194:195]
	v_fma_f64 v[220:221], v[54:55], s[20:21], v[236:237]
	v_add_f64 v[170:171], v[222:223], v[170:171]
	v_add_f64 v[144:145], v[144:145], v[198:199]
	;; [unrolled: 1-line block ×4, first 2 shown]
	v_mul_f64 v[222:223], v[224:225], s[26:27]
	v_add_f64 v[146:147], v[146:147], v[200:201]
	v_fma_f64 v[198:199], v[212:213], s[14:15], v[202:203]
	v_fma_f64 v[202:203], v[212:213], s[14:15], -v[202:203]
	v_fma_f64 v[176:177], v[212:213], s[12:13], v[238:239]
	v_fma_f64 v[200:201], v[54:55], s[28:29], v[236:237]
	;; [unrolled: 1-line block ×3, first 2 shown]
	v_fma_f64 v[236:237], v[212:213], s[12:13], -v[238:239]
	v_fma_f64 v[238:239], v[54:55], s[46:47], v[240:241]
	v_add_f64 v[162:163], v[162:163], v[204:205]
	v_add_f64 v[168:169], v[168:169], v[206:207]
	;; [unrolled: 1-line block ×3, first 2 shown]
	v_fma_f64 v[190:191], v[212:213], s[8:9], v[208:209]
	v_fma_f64 v[204:205], v[54:55], s[54:55], v[210:211]
	v_fma_f64 v[206:207], v[212:213], s[8:9], -v[208:209]
	v_fma_f64 v[208:209], v[54:55], s[18:19], v[210:211]
	v_add_f64 v[12:13], v[12:13], v[112:113]
	v_add_f64 v[22:23], v[22:23], v[114:115]
	v_fma_f64 v[112:113], v[212:213], s[34:35], v[36:37]
	v_fma_f64 v[114:115], v[54:55], s[52:53], v[180:181]
	;; [unrolled: 1-line block ×3, first 2 shown]
	v_add_f64 v[98:99], v[220:221], v[98:99]
	v_fma_f64 v[220:221], v[54:55], s[26:27], v[226:227]
	v_fma_f64 v[36:37], v[212:213], s[34:35], -v[36:37]
	v_add_f64 v[56:57], v[186:187], v[56:57]
	v_mul_f64 v[186:187], v[224:225], s[22:23]
	v_add_f64 v[20:21], v[198:199], v[20:21]
	v_add_f64 v[164:165], v[202:203], v[164:165]
	;; [unrolled: 1-line block ×3, first 2 shown]
	v_fma_f64 v[176:177], v[212:213], s[24:25], v[222:223]
	v_fma_f64 v[202:203], v[212:213], s[24:25], -v[222:223]
	v_add_f64 v[174:175], v[200:201], v[174:175]
	v_add_f64 v[142:143], v[178:179], v[142:143]
	v_fma_f64 v[178:179], v[54:55], s[38:39], v[226:227]
	v_add_f64 v[4:5], v[236:237], v[4:5]
	v_add_f64 v[6:7], v[238:239], v[6:7]
	;; [unrolled: 1-line block ×10, first 2 shown]
	v_fma_f64 v[158:159], v[212:213], s[10:11], v[186:187]
	v_fma_f64 v[186:187], v[212:213], s[10:11], -v[186:187]
	v_add_f64 v[144:145], v[176:177], v[144:145]
	v_add_f64 v[148:149], v[202:203], v[148:149]
	;; [unrolled: 1-line block ×5, first 2 shown]
	s_waitcnt vmcnt(0)
	v_add_f64 v[196:197], v[2:3], -v[52:53]
	v_add_f64 v[46:47], v[2:3], v[52:53]
	scratch_load_b64 v[2:3], off, off offset:1656 ; 8-byte Folded Reload
	v_fma_f64 v[52:53], v[212:213], s[16:17], -v[214:215]
	v_fma_f64 v[214:215], v[54:55], s[36:37], v[218:219]
	v_mul_f64 v[218:219], v[60:61], s[0:1]
	v_mul_f64 v[60:61], v[60:61], s[10:11]
	;; [unrolled: 1-line block ×5, first 2 shown]
	v_add_f64 v[52:53], v[52:53], v[156:157]
	v_add_f64 v[14:15], v[214:215], v[14:15]
	v_fma_f64 v[156:157], v[212:213], s[0:1], v[216:217]
	v_fma_f64 v[214:215], v[54:55], s[42:43], v[218:219]
	;; [unrolled: 1-line block ×3, first 2 shown]
	v_mul_f64 v[204:205], v[196:197], s[36:37]
	v_mul_f64 v[220:221], v[196:197], s[28:29]
	;; [unrolled: 1-line block ×3, first 2 shown]
	v_fma_f64 v[216:217], v[212:213], s[0:1], -v[216:217]
	v_mul_f64 v[200:201], v[46:47], s[12:13]
	v_fma_f64 v[218:219], v[54:55], s[30:31], v[218:219]
	v_mul_f64 v[180:181], v[46:47], s[0:1]
	v_fma_f64 v[54:55], v[54:55], s[22:23], v[60:61]
	v_add_f64 v[60:61], v[206:207], v[188:189]
	v_mul_f64 v[206:207], v[46:47], s[16:17]
	v_mul_f64 v[226:227], v[46:47], s[34:35]
	v_add_f64 v[156:157], v[156:157], v[192:193]
	v_add_f64 v[192:193], v[214:215], v[194:195]
	v_mul_f64 v[214:215], v[196:197], s[22:23]
	v_add_f64 v[160:161], v[160:161], v[168:169]
	v_mul_f64 v[168:169], v[196:197], s[18:19]
	;; [unrolled: 2-line block ×3, first 2 shown]
	v_add_f64 v[172:173], v[218:219], v[172:173]
	v_add_f64 v[22:23], v[54:55], v[22:23]
	s_waitcnt vmcnt(0)
	v_add_f64 v[210:211], v[2:3], v[50:51]
	v_add_f64 v[42:43], v[2:3], -v[50:51]
	scratch_load_b64 v[2:3], off, off offset:1640 ; 8-byte Folded Reload
	v_mul_f64 v[50:51], v[196:197], s[26:27]
	v_fma_f64 v[208:209], v[210:211], s[12:13], v[198:199]
	v_fma_f64 v[190:191], v[42:43], s[38:39], v[224:225]
	;; [unrolled: 1-line block ×3, first 2 shown]
	s_delay_alu instid0(VALU_DEP_4)
	v_fma_f64 v[188:189], v[210:211], s[24:25], v[50:51]
	v_fma_f64 v[162:163], v[42:43], s[30:31], v[180:181]
	v_fma_f64 v[54:55], v[210:211], s[0:1], -v[154:155]
	v_fma_f64 v[186:187], v[42:43], s[50:51], v[206:207]
	v_fma_f64 v[176:177], v[210:211], s[12:13], -v[198:199]
	v_fma_f64 v[178:179], v[42:43], s[40:41], v[200:201]
	v_fma_f64 v[198:199], v[210:211], s[34:35], v[222:223]
	;; [unrolled: 1-line block ×3, first 2 shown]
	v_fma_f64 v[202:203], v[210:211], s[34:35], -v[222:223]
	v_fma_f64 v[218:219], v[42:43], s[44:45], v[226:227]
	v_mul_f64 v[222:223], v[46:47], s[14:15]
	v_mul_f64 v[46:47], v[46:47], s[8:9]
	v_add_f64 v[20:21], v[208:209], v[20:21]
	v_add_f64 v[150:151], v[190:191], v[150:151]
	v_fma_f64 v[190:191], v[42:43], s[36:37], v[206:207]
	v_add_f64 v[56:57], v[188:189], v[56:57]
	v_fma_f64 v[188:189], v[210:211], s[16:17], -v[204:205]
	v_add_f64 v[36:37], v[54:55], v[36:37]
	v_add_f64 v[112:113], v[162:163], v[112:113]
	;; [unrolled: 1-line block ×4, first 2 shown]
	v_fma_f64 v[176:177], v[210:211], s[10:11], -v[214:215]
	v_fma_f64 v[178:179], v[42:43], s[22:23], v[216:217]
	v_add_f64 v[96:97], v[198:199], v[96:97]
	v_add_f64 v[142:143], v[200:201], v[142:143]
	;; [unrolled: 1-line block ×4, first 2 shown]
	v_fma_f64 v[198:199], v[210:211], s[14:15], v[220:221]
	v_fma_f64 v[200:201], v[42:43], s[20:21], v[222:223]
	v_fma_f64 v[202:203], v[210:211], s[14:15], -v[220:221]
	v_fma_f64 v[162:163], v[210:211], s[8:9], v[168:169]
	v_add_f64 v[152:153], v[190:191], v[152:153]
	v_add_f64 v[60:61], v[188:189], v[60:61]
	;; [unrolled: 1-line block ×8, first 2 shown]
	s_waitcnt vmcnt(0)
	v_add_f64 v[194:195], v[2:3], -v[44:45]
	v_add_f64 v[38:39], v[2:3], v[44:45]
	v_dual_mov_b32 v2, v16 :: v_dual_mov_b32 v3, v17
	v_fma_f64 v[44:45], v[210:211], s[24:25], -v[50:51]
	v_fma_f64 v[50:51], v[42:43], s[26:27], v[224:225]
	v_fma_f64 v[224:225], v[210:211], s[0:1], v[154:155]
	;; [unrolled: 1-line block ×4, first 2 shown]
	v_add_f64 v[196:197], v[2:3], v[40:41]
	v_add_f64 v[16:17], v[2:3], -v[40:41]
	scratch_load_b64 v[2:3], off, off offset:1672 ; 8-byte Folded Reload
	v_mul_f64 v[206:207], v[194:195], s[48:49]
	v_mul_f64 v[204:205], v[38:39], s[34:35]
	;; [unrolled: 1-line block ×4, first 2 shown]
	v_add_f64 v[44:45], v[44:45], v[52:53]
	v_add_f64 v[14:15], v[50:51], v[14:15]
	v_add_f64 v[50:51], v[212:213], v[174:175]
	v_fma_f64 v[52:53], v[210:211], s[10:11], v[214:215]
	v_fma_f64 v[174:175], v[42:43], s[48:49], v[216:217]
	v_add_f64 v[54:55], v[154:155], v[114:115]
	v_add_f64 v[154:155], v[186:187], v[184:185]
	v_mul_f64 v[216:217], v[194:195], s[18:19]
	v_mul_f64 v[218:219], v[38:39], s[8:9]
	v_fma_f64 v[212:213], v[42:43], s[28:29], v[222:223]
	v_fma_f64 v[214:215], v[42:43], s[54:55], v[46:47]
	v_fma_f64 v[114:115], v[210:211], s[8:9], -v[168:169]
	v_fma_f64 v[42:43], v[42:43], s[18:19], v[46:47]
	v_add_f64 v[46:47], v[180:181], v[182:183]
	v_mul_f64 v[168:169], v[194:195], s[36:37]
	v_mul_f64 v[180:181], v[38:39], s[16:17]
	;; [unrolled: 1-line block ×7, first 2 shown]
	v_add_f64 v[58:59], v[224:225], v[58:59]
	v_mul_f64 v[38:39], v[38:39], s[14:15]
	v_fma_f64 v[34:35], v[196:197], s[10:11], -v[206:207]
	v_fma_f64 v[184:185], v[16:17], s[44:45], v[204:205]
	v_fma_f64 v[186:187], v[16:17], s[52:53], v[204:205]
	v_mul_f64 v[204:205], v[194:195], s[38:39]
	v_fma_f64 v[182:183], v[196:197], s[34:35], v[40:41]
	v_fma_f64 v[40:41], v[196:197], s[34:35], -v[40:41]
	v_fma_f64 v[178:179], v[16:17], s[48:49], v[208:209]
	v_add_f64 v[52:53], v[52:53], v[156:157]
	v_add_f64 v[156:157], v[174:175], v[192:193]
	v_fma_f64 v[174:175], v[196:197], s[10:11], v[206:207]
	v_fma_f64 v[192:193], v[16:17], s[22:23], v[208:209]
	;; [unrolled: 1-line block ×4, first 2 shown]
	v_add_f64 v[166:167], v[212:213], v[166:167]
	v_add_f64 v[160:161], v[214:215], v[160:161]
	v_fma_f64 v[206:207], v[196:197], s[8:9], -v[216:217]
	v_fma_f64 v[208:209], v[16:17], s[18:19], v[218:219]
	v_add_f64 v[12:13], v[114:115], v[12:13]
	v_add_f64 v[22:23], v[42:43], v[22:23]
	v_mul_f64 v[42:43], v[194:195], s[20:21]
	v_fma_f64 v[114:115], v[196:197], s[16:17], v[168:169]
	v_fma_f64 v[194:195], v[16:17], s[50:51], v[180:181]
	v_fma_f64 v[168:169], v[196:197], s[16:17], -v[168:169]
	v_fma_f64 v[180:181], v[16:17], s[36:37], v[180:181]
	v_fma_f64 v[214:215], v[16:17], s[42:43], v[200:201]
	;; [unrolled: 1-line block ×3, first 2 shown]
	v_mul_f64 v[216:217], v[24:25], s[12:13]
	v_add_f64 v[34:35], v[34:35], v[164:165]
	v_add_f64 v[150:151], v[184:185], v[150:151]
	;; [unrolled: 1-line block ×3, first 2 shown]
	v_fma_f64 v[184:185], v[196:197], s[12:13], -v[188:189]
	v_add_f64 v[56:57], v[182:183], v[56:57]
	v_add_f64 v[40:41], v[40:41], v[44:45]
	v_fma_f64 v[44:45], v[196:197], s[12:13], v[188:189]
	v_fma_f64 v[182:183], v[16:17], s[46:47], v[190:191]
	;; [unrolled: 1-line block ×3, first 2 shown]
	v_add_f64 v[20:21], v[174:175], v[20:21]
	v_fma_f64 v[174:175], v[196:197], s[24:25], v[204:205]
	v_add_f64 v[50:51], v[192:193], v[50:51]
	v_fma_f64 v[188:189], v[16:17], s[26:27], v[210:211]
	v_add_f64 v[190:191], v[30:31], v[8:9]
	v_add_f64 v[98:99], v[178:179], v[98:99]
	v_fma_f64 v[164:165], v[196:197], s[24:25], -v[204:205]
	v_fma_f64 v[178:179], v[16:17], s[38:39], v[210:211]
	v_fma_f64 v[204:205], v[196:197], s[0:1], v[198:199]
	v_fma_f64 v[198:199], v[196:197], s[0:1], -v[198:199]
	v_add_f64 v[96:97], v[162:163], v[96:97]
	v_add_f64 v[142:143], v[202:203], v[142:143]
	;; [unrolled: 1-line block ×4, first 2 shown]
	v_fma_f64 v[206:207], v[196:197], s[14:15], v[42:43]
	v_fma_f64 v[208:209], v[16:17], s[28:29], v[38:39]
	v_add_f64 v[58:59], v[114:115], v[58:59]
	v_add_f64 v[112:113], v[194:195], v[112:113]
	;; [unrolled: 1-line block ×4, first 2 shown]
	v_fma_f64 v[42:43], v[196:197], s[14:15], -v[42:43]
	v_fma_f64 v[16:17], v[16:17], s[20:21], v[38:39]
	v_add_f64 v[166:167], v[200:201], v[166:167]
	v_add_f64 v[146:147], v[214:215], v[146:147]
	v_mul_f64 v[214:215], v[24:25], s[10:11]
	v_add_f64 v[38:39], v[44:45], v[46:47]
	v_add_f64 v[44:45], v[182:183], v[154:155]
	;; [unrolled: 1-line block ×5, first 2 shown]
	v_add_f64 v[174:175], v[232:233], -v[0:1]
	scratch_load_b64 v[0:1], off, off offset:1344 ; 8-byte Folded Reload
	v_add_f64 v[156:157], v[188:189], v[156:157]
	v_add_f64 v[164:165], v[164:165], v[170:171]
	;; [unrolled: 1-line block ×9, first 2 shown]
	s_waitcnt vmcnt(1)
	v_add_f64 v[176:177], v[2:3], -v[228:229]
	v_add_f64 v[32:33], v[2:3], v[228:229]
	s_delay_alu instid0(VALU_DEP_2) | instskip(NEXT) | instid1(VALU_DEP_2)
	v_mul_f64 v[30:31], v[176:177], s[20:21]
	v_mul_f64 v[192:193], v[32:33], s[14:15]
	;; [unrolled: 1-line block ×14, first 2 shown]
	v_fma_f64 v[180:181], v[190:191], s[14:15], v[30:31]
	v_fma_f64 v[182:183], v[26:27], s[28:29], v[192:193]
	v_fma_f64 v[30:31], v[190:191], s[14:15], -v[30:31]
	v_fma_f64 v[184:185], v[26:27], s[20:21], v[192:193]
	v_fma_f64 v[172:173], v[190:191], s[34:35], v[210:211]
	;; [unrolled: 1-line block ×3, first 2 shown]
	v_fma_f64 v[186:187], v[190:191], s[34:35], -v[210:211]
	v_fma_f64 v[188:189], v[26:27], s[44:45], v[212:213]
	v_mul_f64 v[192:193], v[176:177], s[54:55]
	v_fma_f64 v[196:197], v[190:191], s[0:1], v[162:163]
	v_fma_f64 v[198:199], v[26:27], s[42:43], v[202:203]
	v_fma_f64 v[162:163], v[190:191], s[0:1], -v[162:163]
	v_fma_f64 v[200:201], v[26:27], s[30:31], v[202:203]
	v_mul_f64 v[202:203], v[176:177], s[40:41]
	v_dual_mov_b32 v212, v253 :: v_dual_mov_b32 v213, v254
	v_fma_f64 v[206:207], v[190:191], s[10:11], v[114:115]
	v_fma_f64 v[208:209], v[26:27], s[48:49], v[168:169]
	v_fma_f64 v[42:43], v[190:191], s[10:11], -v[114:115]
	v_fma_f64 v[114:115], v[26:27], s[22:23], v[168:169]
	v_fma_f64 v[168:169], v[190:191], s[24:25], v[152:153]
	;; [unrolled: 1-line block ×3, first 2 shown]
	v_fma_f64 v[152:153], v[190:191], s[24:25], -v[152:153]
	v_fma_f64 v[154:155], v[26:27], s[38:39], v[154:155]
	v_add_f64 v[210:211], v[212:213], v[18:19]
	v_add_f64 v[18:19], v[212:213], -v[18:19]
	v_mul_f64 v[212:213], v[174:175], s[22:23]
	v_add_f64 v[56:57], v[180:181], v[56:57]
	v_add_f64 v[150:151], v[182:183], v[150:151]
	;; [unrolled: 1-line block ×4, first 2 shown]
	v_mul_f64 v[40:41], v[174:175], s[50:51]
	v_mul_f64 v[180:181], v[24:25], s[16:17]
	v_add_f64 v[20:21], v[172:173], v[20:21]
	v_add_f64 v[50:51], v[178:179], v[50:51]
	v_mul_f64 v[172:173], v[174:175], s[26:27]
	v_mul_f64 v[178:179], v[24:25], s[24:25]
	v_add_f64 v[182:183], v[186:187], v[34:35]
	v_add_f64 v[98:99], v[188:189], v[98:99]
	v_fma_f64 v[184:185], v[26:27], s[18:19], v[194:195]
	v_fma_f64 v[186:187], v[190:191], s[8:9], -v[192:193]
	v_fma_f64 v[188:189], v[26:27], s[54:55], v[194:195]
	v_add_f64 v[4:5], v[162:163], v[4:5]
	v_fma_f64 v[162:163], v[190:191], s[12:13], v[202:203]
	v_fma_f64 v[34:35], v[190:191], s[8:9], v[192:193]
	v_add_f64 v[96:97], v[196:197], v[96:97]
	v_add_f64 v[142:143], v[198:199], v[142:143]
	;; [unrolled: 1-line block ×3, first 2 shown]
	v_fma_f64 v[192:193], v[26:27], s[46:47], v[204:205]
	v_add_f64 v[58:59], v[206:207], v[58:59]
	v_fma_f64 v[194:195], v[190:191], s[12:13], -v[202:203]
	v_fma_f64 v[196:197], v[26:27], s[40:41], v[204:205]
	v_fma_f64 v[198:199], v[190:191], s[16:17], v[22:23]
	;; [unrolled: 1-line block ×3, first 2 shown]
	v_add_f64 v[202:203], v[42:43], v[36:37]
	v_add_f64 v[54:55], v[114:115], v[54:55]
	;; [unrolled: 1-line block ×3, first 2 shown]
	v_fma_f64 v[22:23], v[190:191], s[16:17], -v[22:23]
	v_fma_f64 v[26:27], v[26:27], s[50:51], v[32:33]
	v_add_f64 v[168:169], v[176:177], v[44:45]
	v_mul_f64 v[38:39], v[174:175], s[28:29]
	v_mul_f64 v[176:177], v[24:25], s[14:15]
	v_add_f64 v[152:153], v[152:153], v[46:47]
	v_add_f64 v[60:61], v[154:155], v[60:61]
	v_mul_f64 v[206:207], v[174:175], s[30:31]
	v_add_f64 v[112:113], v[208:209], v[112:113]
	v_fma_f64 v[32:33], v[210:211], s[10:11], v[212:213]
	v_fma_f64 v[36:37], v[18:19], s[48:49], v[214:215]
	v_fma_f64 v[42:43], v[210:211], s[10:11], -v[212:213]
	v_fma_f64 v[44:45], v[18:19], s[22:23], v[214:215]
	v_mul_f64 v[212:213], v[24:25], s[0:1]
	v_fma_f64 v[190:191], v[210:211], s[16:17], v[40:41]
	v_fma_f64 v[204:205], v[18:19], s[36:37], v[180:181]
	v_fma_f64 v[40:41], v[210:211], s[16:17], -v[40:41]
	v_fma_f64 v[46:47], v[18:19], s[50:51], v[180:181]
	v_fma_f64 v[154:155], v[210:211], s[24:25], v[172:173]
	v_fma_f64 v[180:181], v[18:19], s[38:39], v[178:179]
	v_add_f64 v[156:157], v[184:185], v[156:157]
	v_mul_f64 v[184:185], v[174:175], s[40:41]
	v_add_f64 v[164:165], v[186:187], v[164:165]
	v_add_f64 v[170:171], v[188:189], v[170:171]
	v_mul_f64 v[186:187], v[174:175], s[18:19]
	v_mul_f64 v[188:189], v[24:25], s[8:9]
	v_add_f64 v[144:145], v[162:163], v[144:145]
	v_mul_f64 v[162:163], v[174:175], s[52:53]
	v_mul_f64 v[174:175], v[24:25], s[34:35]
	v_add_f64 v[214:215], v[34:35], v[52:53]
	v_dual_mov_b32 v24, v248 :: v_dual_mov_b32 v25, v249
	v_dual_mov_b32 v34, v250 :: v_dual_mov_b32 v35, v251
	v_add_f64 v[146:147], v[192:193], v[146:147]
	v_add_f64 v[148:149], v[194:195], v[148:149]
	;; [unrolled: 1-line block ×4, first 2 shown]
	v_fma_f64 v[178:179], v[18:19], s[26:27], v[178:179]
	v_add_f64 v[16:17], v[26:27], v[16:17]
	v_fma_f64 v[172:173], v[210:211], s[24:25], -v[172:173]
	v_add_f64 v[160:161], v[200:201], v[160:161]
	v_add_f64 v[12:13], v[22:23], v[12:13]
	v_add_f64 v[166:167], v[24:25], -v[34:35]
	v_add_f64 v[192:193], v[24:25], v[34:35]
	v_add_f64 v[24:25], v[32:33], v[56:57]
	;; [unrolled: 1-line block ×5, first 2 shown]
	v_fma_f64 v[14:15], v[18:19], s[20:21], v[176:177]
	v_fma_f64 v[36:37], v[210:211], s[14:15], v[38:39]
	v_fma_f64 v[38:39], v[210:211], s[14:15], -v[38:39]
	v_dual_mov_b32 v30, v244 :: v_dual_mov_b32 v31, v245
	v_dual_mov_b32 v44, v246 :: v_dual_mov_b32 v45, v247
	v_fma_f64 v[56:57], v[210:211], s[0:1], v[206:207]
	v_add_f64 v[32:33], v[190:191], v[20:21]
	v_add_f64 v[20:21], v[204:205], v[50:51]
	;; [unrolled: 1-line block ×3, first 2 shown]
	v_fma_f64 v[50:51], v[18:19], s[28:29], v[176:177]
	v_add_f64 v[40:41], v[154:155], v[96:97]
	v_add_f64 v[42:43], v[180:181], v[142:143]
	v_fma_f64 v[96:97], v[18:19], s[42:43], v[212:213]
	v_fma_f64 v[142:143], v[18:19], s[30:31], v[212:213]
	;; [unrolled: 1-line block ×4, first 2 shown]
	v_fma_f64 v[182:183], v[210:211], s[12:13], -v[184:185]
	v_fma_f64 v[184:185], v[18:19], s[40:41], v[216:217]
	v_fma_f64 v[198:199], v[18:19], s[54:55], v[188:189]
	v_fma_f64 v[204:205], v[18:19], s[18:19], v[188:189]
	v_fma_f64 v[212:213], v[18:19], s[44:45], v[174:175]
	v_fma_f64 v[18:19], v[18:19], s[52:53], v[174:175]
	v_fma_f64 v[196:197], v[210:211], s[8:9], v[186:187]
	v_fma_f64 v[186:187], v[210:211], s[8:9], -v[186:187]
	v_add_f64 v[236:237], v[30:31], v[44:45]
	v_add_f64 v[238:239], v[30:31], -v[44:45]
	v_add_f64 v[44:45], v[172:173], v[4:5]
	v_add_f64 v[22:23], v[46:47], v[98:99]
	;; [unrolled: 1-line block ×3, first 2 shown]
	v_fma_f64 v[98:99], v[210:211], s[0:1], -v[206:207]
	v_fma_f64 v[206:207], v[210:211], s[34:35], v[162:163]
	v_fma_f64 v[162:163], v[210:211], s[34:35], -v[162:163]
	v_mul_f64 v[174:175], v[166:167], s[40:41]
	v_mul_f64 v[240:241], v[192:193], s[12:13]
	;; [unrolled: 1-line block ×5, first 2 shown]
	v_add_f64 v[36:37], v[36:37], v[58:59]
	v_add_f64 v[200:201], v[38:39], v[202:203]
	v_mul_f64 v[58:59], v[166:167], s[18:19]
	v_add_f64 v[46:47], v[14:15], v[112:113]
	v_mul_f64 v[14:15], v[166:167], s[20:21]
	v_mul_f64 v[242:243], v[192:193], s[0:1]
	v_add_f64 v[188:189], v[56:57], v[114:115]
	v_mul_f64 v[56:57], v[166:167], s[38:39]
	v_mul_f64 v[244:245], v[192:193], s[10:11]
	;; [unrolled: 1-line block ×7, first 2 shown]
	v_add_f64 v[38:39], v[50:51], v[54:55]
	v_add_f64 v[180:181], v[150:151], v[214:215]
	v_mul_f64 v[54:55], v[166:167], s[52:53]
	v_add_f64 v[190:191], v[96:97], v[168:169]
	v_add_f64 v[112:113], v[184:185], v[170:171]
	;; [unrolled: 1-line block ×6, first 2 shown]
	s_waitcnt vmcnt(0)
	v_add_f64 v[16:17], v[62:63], v[0:1]
	scratch_load_b64 v[0:1], off, off offset:8 ; 8-byte Folded Reload
	v_add_f64 v[166:167], v[186:187], v[148:149]
	v_add_f64 v[168:169], v[196:197], v[144:145]
	s_waitcnt vmcnt(0)
	s_waitcnt_vscnt null, 0x0
	s_barrier
	buffer_gl0_inv
	v_add_f64 v[156:157], v[212:213], v[160:161]
	v_add_f64 v[158:159], v[206:207], v[158:159]
	;; [unrolled: 1-line block ×8, first 2 shown]
	v_fma_f64 v[226:227], v[236:237], s[12:13], v[174:175]
	v_fma_f64 v[224:225], v[236:237], s[12:13], -v[174:175]
	v_fma_f64 v[186:187], v[236:237], s[16:17], v[172:173]
	v_fma_f64 v[184:185], v[236:237], s[16:17], -v[172:173]
	;; [unrolled: 2-line block ×3, first 2 shown]
	v_fma_f64 v[222:223], v[238:239], s[46:47], v[240:241]
	v_fma_f64 v[220:221], v[236:237], s[0:1], v[4:5]
	v_fma_f64 v[216:217], v[238:239], s[30:31], v[242:243]
	v_fma_f64 v[214:215], v[236:237], s[10:11], v[6:7]
	v_fma_f64 v[210:211], v[238:239], s[48:49], v[244:245]
	v_fma_f64 v[212:213], v[236:237], s[10:11], -v[6:7]
	v_fma_f64 v[206:207], v[236:237], s[8:9], v[58:59]
	v_fma_f64 v[202:203], v[238:239], s[54:55], v[246:247]
	;; [unrolled: 1-line block ×7, first 2 shown]
	v_fma_f64 v[152:153], v[236:237], s[24:25], -v[56:57]
	v_fma_f64 v[154:155], v[238:239], s[38:39], v[114:115]
	v_fma_f64 v[146:147], v[238:239], s[52:53], v[253:254]
	;; [unrolled: 1-line block ×4, first 2 shown]
	v_fma_f64 v[204:205], v[236:237], s[8:9], -v[58:59]
	v_fma_f64 v[60:61], v[238:239], s[18:19], v[246:247]
	v_fma_f64 v[58:59], v[238:239], s[22:23], v[244:245]
	v_fma_f64 v[218:219], v[236:237], s[0:1], -v[4:5]
	v_fma_f64 v[56:57], v[238:239], s[42:43], v[242:243]
	v_add_f64 v[4:5], v[122:123], v[118:119]
	v_add_f64 v[6:7], v[140:141], v[116:117]
	v_fma_f64 v[174:175], v[236:237], s[34:35], v[54:55]
	v_fma_f64 v[172:173], v[236:237], s[34:35], -v[54:55]
	v_fma_f64 v[54:55], v[238:239], s[40:41], v[240:241]
	v_add_f64 v[24:25], v[226:227], v[24:25]
	v_add_f64 v[8:9], v[224:225], v[34:35]
	;; [unrolled: 1-line block ×28, first 2 shown]
	v_add_nc_u32_e32 v144, 0x660, v252
	v_add_f64 v[174:175], v[174:175], v[168:169]
	v_add_f64 v[140:141], v[172:173], v[166:167]
	;; [unrolled: 1-line block ×4, first 2 shown]
	s_clause 0x1
	scratch_load_b32 v52, off, off offset:1312
	scratch_load_b128 v[0:3], off, off offset:1328
	v_add_f64 v[48:49], v[196:197], v[192:193]
	s_waitcnt vmcnt(0)
	ds_store_b128 v52, v[0:3]
	scratch_load_b128 v[0:3], off, off offset:1360 ; 16-byte Folded Reload
	s_waitcnt vmcnt(0)
	ds_store_b128 v52, v[0:3] offset:112
	ds_store_b128 v52, v[84:87] offset:224
	;; [unrolled: 1-line block ×16, first 2 shown]
	ds_store_b128 v255, v[12:15]
	ds_store_b128 v255, v[24:27] offset:112
	ds_store_b128 v255, v[32:35] offset:224
	;; [unrolled: 1-line block ×16, first 2 shown]
	s_and_saveexec_b32 s33, vcc_lo
	s_cbranch_execz .LBB0_9
; %bb.8:
	s_clause 0x1
	scratch_load_b128 v[4:7], off, off offset:2168
	scratch_load_b128 v[8:11], off, off offset:64
	v_mov_b32_e32 v170, v230
	s_waitcnt vmcnt(0)
	v_mul_f64 v[0:1], v[6:7], v[10:11]
	v_mul_f64 v[2:3], v[6:7], v[8:9]
	s_delay_alu instid0(VALU_DEP_2) | instskip(NEXT) | instid1(VALU_DEP_2)
	v_fma_f64 v[0:1], v[4:5], v[8:9], v[0:1]
	v_fma_f64 v[2:3], v[4:5], v[10:11], -v[2:3]
	s_clause 0x1
	scratch_load_b128 v[6:9], off, off offset:2328
	scratch_load_b128 v[10:13], off, off offset:96
	v_add_f64 v[148:149], v[100:101], v[0:1]
	v_add_f64 v[146:147], v[102:103], v[2:3]
	s_waitcnt vmcnt(0)
	v_mul_f64 v[4:5], v[8:9], v[12:13]
	s_delay_alu instid0(VALU_DEP_1) | instskip(SKIP_1) | instid1(VALU_DEP_2)
	v_fma_f64 v[28:29], v[6:7], v[10:11], v[4:5]
	v_mul_f64 v[4:5], v[8:9], v[10:11]
	v_add_f64 v[116:117], v[0:1], v[28:29]
	s_delay_alu instid0(VALU_DEP_2)
	v_fma_f64 v[72:73], v[6:7], v[12:13], -v[4:5]
	s_clause 0x1
	scratch_load_b128 v[6:9], off, off offset:2232
	scratch_load_b128 v[10:13], off, off offset:240
	s_waitcnt vmcnt(0)
	v_mul_f64 v[4:5], v[8:9], v[12:13]
	s_delay_alu instid0(VALU_DEP_1) | instskip(SKIP_1) | instid1(VALU_DEP_1)
	v_fma_f64 v[164:165], v[6:7], v[10:11], v[4:5]
	v_mul_f64 v[4:5], v[8:9], v[10:11]
	v_fma_f64 v[187:188], v[6:7], v[12:13], -v[4:5]
	s_clause 0x1
	scratch_load_b128 v[6:9], off, off offset:2264
	scratch_load_b128 v[10:13], off, off offset:256
	s_waitcnt vmcnt(0)
	v_mul_f64 v[4:5], v[8:9], v[12:13]
	s_delay_alu instid0(VALU_DEP_1) | instskip(SKIP_1) | instid1(VALU_DEP_1)
	v_fma_f64 v[166:167], v[6:7], v[10:11], v[4:5]
	v_mul_f64 v[4:5], v[8:9], v[10:11]
	;; [unrolled: 9-line block ×6, first 2 shown]
	v_fma_f64 v[201:202], v[6:7], v[12:13], -v[4:5]
	s_clause 0x1
	scratch_load_b128 v[10:13], off, off offset:2184
	scratch_load_b128 v[16:19], off, off offset:128
	s_waitcnt vmcnt(0)
	v_mul_f64 v[4:5], v[12:13], v[18:19]
	v_mul_f64 v[6:7], v[12:13], v[16:17]
	s_clause 0x1
	scratch_load_b128 v[12:15], off, off offset:2248
	scratch_load_b128 v[40:43], off, off offset:160
	v_fma_f64 v[32:33], v[10:11], v[16:17], v[4:5]
	v_fma_f64 v[46:47], v[10:11], v[18:19], -v[6:7]
	s_clause 0x3
	scratch_load_b128 v[16:19], off, off offset:2152
	scratch_load_b128 v[20:23], off, off offset:112
	scratch_load_b128 v[24:27], off, off offset:2280
	scratch_load_b128 v[60:63], off, off offset:144
	v_add_f64 v[6:7], v[0:1], -v[28:29]
	s_delay_alu instid0(VALU_DEP_1)
	v_mul_f64 v[74:75], v[6:7], s[20:21]
	v_mul_f64 v[84:85], v[6:7], s[36:37]
	v_mul_f64 v[86:87], v[6:7], s[54:55]
	s_waitcnt vmcnt(4)
	v_mul_f64 v[8:9], v[14:15], v[42:43]
	v_mul_f64 v[4:5], v[14:15], v[40:41]
	s_delay_alu instid0(VALU_DEP_2) | instskip(NEXT) | instid1(VALU_DEP_2)
	v_fma_f64 v[40:41], v[12:13], v[40:41], v[8:9]
	v_fma_f64 v[42:43], v[12:13], v[42:43], -v[4:5]
	s_clause 0x1
	scratch_load_b128 v[12:15], off, off offset:2136
	scratch_load_b128 v[68:71], off, off offset:80
	s_waitcnt vmcnt(4)
	v_mul_f64 v[10:11], v[18:19], v[22:23]
	v_mul_f64 v[48:49], v[18:19], v[20:21]
	s_waitcnt vmcnt(2)
	v_mul_f64 v[50:51], v[26:27], v[62:63]
	v_mul_f64 v[4:5], v[26:27], v[60:61]
	s_delay_alu instid0(VALU_DEP_4) | instskip(NEXT) | instid1(VALU_DEP_4)
	v_fma_f64 v[140:141], v[16:17], v[20:21], v[10:11]
	v_fma_f64 v[48:49], v[16:17], v[22:23], -v[48:49]
	s_delay_alu instid0(VALU_DEP_4) | instskip(NEXT) | instid1(VALU_DEP_4)
	v_fma_f64 v[26:27], v[24:25], v[60:61], v[50:51]
	v_fma_f64 v[24:25], v[24:25], v[62:63], -v[4:5]
	v_add_f64 v[4:5], v[2:3], -v[72:73]
	v_mov_b32_e32 v255, v144
	v_dual_mov_b32 v50, v140 :: v_dual_mov_b32 v51, v141
	s_delay_alu instid0(VALU_DEP_3)
	v_mul_f64 v[104:105], v[4:5], s[20:21]
	v_mul_f64 v[106:107], v[4:5], s[52:53]
	;; [unrolled: 1-line block ×5, first 2 shown]
	v_fma_f64 v[122:123], v[116:117], s[14:15], -v[104:105]
	v_fma_f64 v[104:105], v[116:117], s[14:15], v[104:105]
	v_fma_f64 v[124:125], v[116:117], s[34:35], -v[106:107]
	v_fma_f64 v[126:127], v[116:117], s[34:35], v[106:107]
	;; [unrolled: 2-line block ×3, first 2 shown]
	v_fma_f64 v[130:131], v[116:117], s[16:17], v[112:113]
	v_fma_f64 v[132:133], v[116:117], s[16:17], -v[112:113]
	v_fma_f64 v[134:135], v[116:117], s[8:9], v[114:115]
	v_fma_f64 v[138:139], v[116:117], s[8:9], -v[114:115]
	v_dual_mov_b32 v115, v25 :: v_dual_mov_b32 v114, v24
	v_dual_mov_b32 v107, v43 :: v_dual_mov_b32 v106, v42
	;; [unrolled: 1-line block ×4, first 2 shown]
	v_add_f64 v[181:182], v[100:101], v[122:123]
	v_add_f64 v[130:131], v[100:101], v[130:131]
	;; [unrolled: 1-line block ×5, first 2 shown]
	s_waitcnt vmcnt(0)
	v_mul_f64 v[56:57], v[14:15], v[70:71]
	v_mul_f64 v[58:59], v[14:15], v[68:69]
	s_clause 0x1
	scratch_load_b128 v[14:17], off, off offset:2120
	scratch_load_b128 v[80:83], off, off offset:48
	s_waitcnt vmcnt(0)
	v_mul_f64 v[64:65], v[16:17], v[82:83]
	v_mul_f64 v[66:67], v[16:17], v[80:81]
	s_clause 0x3
	scratch_load_b128 v[16:19], off, off offset:2088
	scratch_load_b128 v[52:55], off, off offset:16
	;; [unrolled: 1-line block ×4, first 2 shown]
	scratch_store_b64 off, v[72:73], off offset:8 ; 8-byte Folded Spill
	v_fma_f64 v[44:45], v[14:15], v[80:81], v[64:65]
	v_mul_f64 v[80:81], v[6:7], s[52:53]
	v_fma_f64 v[34:35], v[14:15], v[82:83], -v[66:67]
	v_mul_f64 v[82:83], v[6:7], s[26:27]
	s_waitcnt vmcnt(2)
	v_mul_f64 v[60:61], v[18:19], v[52:53]
	s_waitcnt vmcnt(0)
	v_mul_f64 v[10:11], v[22:23], v[78:79]
	v_mul_f64 v[62:63], v[22:23], v[76:77]
	v_fma_f64 v[22:23], v[12:13], v[68:69], v[56:57]
	v_fma_f64 v[12:13], v[12:13], v[70:71], -v[58:59]
	v_add_f64 v[68:69], v[2:3], v[72:73]
	v_mul_f64 v[70:71], v[6:7], s[40:41]
	v_mul_f64 v[72:73], v[6:7], s[22:23]
	;; [unrolled: 1-line block ×4, first 2 shown]
	v_dual_mov_b32 v18, v166 :: v_dual_mov_b32 v19, v167
	v_fma_f64 v[96:97], v[16:17], v[54:55], -v[60:61]
	v_fma_f64 v[76:77], v[20:21], v[76:77], v[10:11]
	v_fma_f64 v[78:79], v[20:21], v[78:79], -v[62:63]
	v_add_f64 v[156:157], v[22:23], -v[44:45]
	v_dual_mov_b32 v113, v13 :: v_dual_mov_b32 v112, v12
	v_fma_f64 v[10:11], v[68:69], s[12:13], v[70:71]
	v_fma_f64 v[60:61], v[68:69], s[12:13], -v[70:71]
	v_fma_f64 v[62:63], v[68:69], s[10:11], v[72:73]
	v_fma_f64 v[70:71], v[68:69], s[10:11], -v[72:73]
	;; [unrolled: 2-line block ×3, first 2 shown]
	v_fma_f64 v[108:109], v[68:69], s[0:1], -v[6:7]
	v_fma_f64 v[6:7], v[68:69], s[0:1], v[6:7]
	v_fma_f64 v[88:89], v[68:69], s[34:35], v[80:81]
	v_fma_f64 v[90:91], v[16:17], v[52:53], v[8:9]
	v_mul_f64 v[8:9], v[4:5], s[40:41]
	v_fma_f64 v[80:81], v[68:69], s[34:35], -v[80:81]
	v_fma_f64 v[92:93], v[68:69], s[24:25], v[82:83]
	v_fma_f64 v[82:83], v[68:69], s[24:25], -v[82:83]
	v_fma_f64 v[94:95], v[68:69], s[16:17], -v[84:85]
	;; [unrolled: 1-line block ×3, first 2 shown]
	v_fma_f64 v[84:85], v[68:69], s[16:17], v[84:85]
	v_fma_f64 v[86:87], v[68:69], s[8:9], v[86:87]
	v_mul_f64 v[68:69], v[4:5], s[22:23]
	v_mul_f64 v[4:5], v[4:5], s[30:31]
	v_add_f64 v[150:151], v[112:113], v[34:35]
	v_add_f64 v[152:153], v[112:113], -v[34:35]
	v_add_f64 v[144:145], v[22:23], v[44:45]
	v_dual_mov_b32 v54, v164 :: v_dual_mov_b32 v55, v165
	v_dual_mov_b32 v12, v18 :: v_dual_mov_b32 v13, v19
	s_delay_alu instid0(VALU_DEP_2)
	v_add_f64 v[164:165], v[54:55], v[18:19]
	v_add_f64 v[158:159], v[96:97], v[78:79]
	v_add_f64 v[160:161], v[96:97], -v[78:79]
	v_mul_f64 v[221:222], v[156:157], s[36:37]
	v_add_f64 v[0:1], v[102:103], v[10:11]
	v_add_f64 v[10:11], v[102:103], v[60:61]
	;; [unrolled: 1-line block ×8, first 2 shown]
	v_add_f64 v[62:63], v[54:55], -v[18:19]
	v_add_f64 v[162:163], v[90:91], -v[76:77]
	v_fma_f64 v[118:119], v[116:117], s[12:13], -v[8:9]
	v_fma_f64 v[8:9], v[116:117], s[12:13], v[8:9]
	v_add_f64 v[154:155], v[90:91], v[76:77]
	v_add_f64 v[122:123], v[102:103], v[82:83]
	;; [unrolled: 1-line block ×4, first 2 shown]
	v_fma_f64 v[120:121], v[116:117], s[10:11], -v[68:69]
	v_fma_f64 v[136:137], v[116:117], s[0:1], v[4:5]
	v_fma_f64 v[4:5], v[116:117], s[0:1], -v[4:5]
	v_fma_f64 v[68:69], v[116:117], s[10:11], v[68:69]
	v_dual_mov_b32 v117, v27 :: v_dual_mov_b32 v116, v26
	v_dual_mov_b32 v26, v213 :: v_dual_mov_b32 v27, v214
	v_mul_f64 v[223:224], v[152:153], s[36:37]
	v_mul_f64 v[227:228], v[152:153], s[20:21]
	s_delay_alu instid0(VALU_DEP_4)
	v_add_f64 v[142:143], v[50:51], -v[116:117]
	v_add_f64 v[108:109], v[50:51], v[116:117]
	v_mul_f64 v[219:220], v[160:161], s[54:55]
	v_mul_f64 v[253:254], v[160:161], s[26:27]
	scratch_store_b64 off, v[14:15], off offset:16 ; 8-byte Folded Spill
	v_add_f64 v[14:15], v[100:101], v[104:105]
	scratch_store_b64 off, v[6:7], off offset:144 ; 8-byte Folded Spill
	v_dual_mov_b32 v105, v49 :: v_dual_mov_b32 v104, v48
	v_add_f64 v[2:3], v[100:101], v[118:119]
	v_add_f64 v[8:9], v[100:101], v[8:9]
	;; [unrolled: 1-line block ×3, first 2 shown]
	v_dual_mov_b32 v48, v201 :: v_dual_mov_b32 v49, v202
	v_mul_f64 v[217:218], v[162:163], s[54:55]
	v_mul_f64 v[250:251], v[162:163], s[26:27]
	v_add_f64 v[22:23], v[90:91], v[22:23]
	v_add_f64 v[173:174], v[100:101], v[120:121]
	;; [unrolled: 1-line block ×5, first 2 shown]
	v_dual_mov_b32 v111, v41 :: v_dual_mov_b32 v110, v40
	v_add_f64 v[140:141], v[104:105], v[114:115]
	v_add_f64 v[132:133], v[104:105], -v[114:115]
	v_dual_mov_b32 v41, v31 :: v_dual_mov_b32 v40, v30
	v_mul_f64 v[193:194], v[142:143], s[18:19]
	v_add_f64 v[98:99], v[32:33], -v[110:111]
	v_mov_b32_e32 v30, v205
	v_add_f64 v[82:83], v[38:39], v[48:49]
	v_add_f64 v[86:87], v[36:37], -v[40:41]
	v_mov_b32_e32 v31, v206
	v_mul_f64 v[225:226], v[142:143], s[26:27]
	v_mul_f64 v[229:230], v[142:143], s[40:41]
	;; [unrolled: 1-line block ×6, first 2 shown]
	scratch_store_b64 off, v[14:15], off offset:32 ; 8-byte Folded Spill
	v_add_f64 v[14:15], v[102:103], v[88:89]
	v_add_f64 v[88:89], v[32:33], v[110:111]
	v_mov_b32_e32 v32, v209
	v_add_f64 v[74:75], v[24:25], -v[30:31]
	v_mov_b32_e32 v33, v210
	v_add_f64 v[68:69], v[24:25], v[30:31]
	s_delay_alu instid0(VALU_DEP_2)
	v_add_f64 v[70:71], v[26:27], v[32:33]
	v_add_f64 v[72:73], v[26:27], -v[32:33]
	v_add_f64 v[22:23], v[22:23], v[50:51]
	v_mul_f64 v[195:196], v[132:133], s[18:19]
	v_mul_f64 v[232:233], v[132:133], s[26:27]
	;; [unrolled: 1-line block ×7, first 2 shown]
	v_fma_f64 v[148:149], v[150:151], s[8:9], v[90:91]
	v_fma_f64 v[90:91], v[150:151], s[8:9], -v[90:91]
	scratch_store_b64 off, v[14:15], off offset:48 ; 8-byte Folded Spill
	v_add_f64 v[14:15], v[100:101], v[124:125]
	v_add_f64 v[124:125], v[102:103], v[94:95]
	v_add_f64 v[94:95], v[46:47], -v[106:107]
	v_mul_f64 v[205:206], v[74:75], s[52:53]
	v_mul_f64 v[242:243], v[74:75], s[22:23]
	;; [unrolled: 1-line block ×6, first 2 shown]
	v_add_f64 v[22:23], v[22:23], v[42:43]
	v_mul_f64 v[42:43], v[160:161], s[20:21]
	scratch_store_b64 off, v[14:15], off offset:64 ; 8-byte Folded Spill
	v_add_f64 v[14:15], v[102:103], v[80:81]
	v_mul_f64 v[199:200], v[94:95], s[20:21]
	v_add_f64 v[80:81], v[36:37], v[40:41]
	v_mul_f64 v[236:237], v[94:95], s[52:53]
	v_add_f64 v[22:23], v[22:23], v[36:37]
	v_fma_f64 v[36:37], v[158:159], s[8:9], v[217:218]
	v_fma_f64 v[50:51], v[154:155], s[14:15], v[42:43]
	v_fma_f64 v[42:43], v[154:155], s[14:15], -v[42:43]
	scratch_store_b64 off, v[14:15], off offset:80 ; 8-byte Folded Spill
	v_add_f64 v[14:15], v[100:101], v[126:127]
	v_add_f64 v[126:127], v[100:101], v[4:5]
	v_mul_f64 v[4:5], v[162:163], s[42:43]
	v_add_f64 v[22:23], v[22:23], v[24:25]
	v_mul_f64 v[24:25], v[162:163], s[20:21]
	v_add_f64 v[50:51], v[50:51], v[130:131]
	v_add_f64 v[42:43], v[42:43], v[189:190]
	scratch_store_b64 off, v[14:15], off offset:96 ; 8-byte Folded Spill
	v_add_f64 v[14:15], v[102:103], v[92:93]
	v_fma_f64 v[6:7], v[158:159], s[0:1], v[4:5]
	v_fma_f64 v[4:5], v[158:159], s[0:1], -v[4:5]
	v_add_f64 v[92:93], v[46:47], v[106:107]
	v_add_f64 v[22:23], v[22:23], v[54:55]
	scratch_load_b64 v[54:55], off, off offset:16 ; 8-byte Folded Reload
	scratch_store_b64 off, v[14:15], off offset:112 ; 8-byte Folded Spill
	v_add_f64 v[0:1], v[6:7], v[0:1]
	v_mul_f64 v[6:7], v[160:161], s[42:43]
	v_add_f64 v[14:15], v[100:101], v[128:129]
	v_mul_f64 v[100:101], v[156:157], s[22:23]
	;; [unrolled: 2-line block ×3, first 2 shown]
	v_add_f64 v[4:5], v[4:5], v[10:11]
	v_add_f64 v[84:85], v[38:39], -v[48:49]
	v_add_f64 v[22:23], v[22:23], v[12:13]
	v_fma_f64 v[60:61], v[154:155], s[0:1], -v[6:7]
	v_fma_f64 v[6:7], v[154:155], s[0:1], v[6:7]
	scratch_store_b64 off, v[14:15], off offset:128 ; 8-byte Folded Spill
	v_dual_mov_b32 v14, v211 :: v_dual_mov_b32 v15, v212
	v_mul_f64 v[211:212], v[62:63], s[38:39]
	v_mul_f64 v[203:204], v[84:85], s[50:51]
	v_mul_f64 v[240:241], v[84:85], s[20:21]
	v_add_f64 v[22:23], v[22:23], v[30:31]
	v_add_f64 v[166:167], v[187:188], -v[14:15]
	v_add_f64 v[2:3], v[60:61], v[2:3]
	v_add_f64 v[6:7], v[6:7], v[8:9]
	v_fma_f64 v[8:9], v[150:151], s[10:11], -v[100:101]
	v_fma_f64 v[60:61], v[150:151], s[10:11], v[100:101]
	v_mul_f64 v[100:101], v[162:163], s[50:51]
	v_add_f64 v[22:23], v[22:23], v[40:41]
	v_mul_f64 v[213:214], v[166:167], s[38:39]
	v_mul_f64 v[248:249], v[166:167], s[40:41]
	;; [unrolled: 1-line block ×3, first 2 shown]
	v_add_f64 v[4:5], v[8:9], v[4:5]
	v_fma_f64 v[8:9], v[144:145], s[10:11], v[102:103]
	v_add_f64 v[0:1], v[60:61], v[0:1]
	v_fma_f64 v[60:61], v[144:145], s[10:11], -v[102:103]
	v_mul_f64 v[102:103], v[160:161], s[50:51]
	v_add_f64 v[22:23], v[22:23], v[110:111]
	v_fma_f64 v[10:11], v[164:165], s[24:25], v[213:214]
	v_add_f64 v[6:7], v[8:9], v[6:7]
	v_fma_f64 v[8:9], v[140:141], s[8:9], -v[193:194]
	v_add_f64 v[2:3], v[60:61], v[2:3]
	v_fma_f64 v[60:61], v[140:141], s[8:9], v[193:194]
	v_add_f64 v[22:23], v[22:23], v[116:117]
	s_delay_alu instid0(VALU_DEP_4) | instskip(SKIP_1) | instid1(VALU_DEP_4)
	v_add_f64 v[4:5], v[8:9], v[4:5]
	v_fma_f64 v[8:9], v[108:109], s[8:9], v[195:196]
	v_add_f64 v[0:1], v[60:61], v[0:1]
	v_fma_f64 v[60:61], v[108:109], s[8:9], -v[195:196]
	v_add_f64 v[12:13], v[22:23], v[44:45]
	v_mul_f64 v[22:23], v[162:163], s[40:41]
	v_add_f64 v[6:7], v[8:9], v[6:7]
	v_fma_f64 v[8:9], v[92:93], s[14:15], -v[197:198]
	v_add_f64 v[2:3], v[60:61], v[2:3]
	v_fma_f64 v[60:61], v[92:93], s[14:15], v[197:198]
	v_add_f64 v[12:13], v[12:13], v[76:77]
	v_fma_f64 v[76:77], v[154:155], s[24:25], -v[253:254]
	v_fma_f64 v[30:31], v[158:159], s[12:13], v[22:23]
	v_fma_f64 v[22:23], v[158:159], s[12:13], -v[22:23]
	v_add_f64 v[4:5], v[8:9], v[4:5]
	v_fma_f64 v[8:9], v[88:89], s[14:15], v[199:200]
	v_add_f64 v[0:1], v[60:61], v[0:1]
	v_fma_f64 v[60:61], v[88:89], s[14:15], -v[199:200]
	v_add_f64 v[12:13], v[12:13], v[28:29]
	v_add_f64 v[76:77], v[76:77], v[138:139]
	;; [unrolled: 1-line block ×3, first 2 shown]
	v_fma_f64 v[122:123], v[140:141], s[12:13], v[229:230]
	v_add_f64 v[6:7], v[8:9], v[6:7]
	v_fma_f64 v[8:9], v[82:83], s[16:17], -v[201:202]
	v_add_f64 v[2:3], v[60:61], v[2:3]
	v_fma_f64 v[60:61], v[82:83], s[16:17], v[201:202]
	s_delay_alu instid0(VALU_DEP_3) | instskip(SKIP_1) | instid1(VALU_DEP_3)
	v_add_f64 v[4:5], v[8:9], v[4:5]
	v_fma_f64 v[8:9], v[80:81], s[16:17], v[203:204]
	v_add_f64 v[0:1], v[60:61], v[0:1]
	v_fma_f64 v[60:61], v[80:81], s[16:17], -v[203:204]
	s_delay_alu instid0(VALU_DEP_3) | instskip(SKIP_1) | instid1(VALU_DEP_3)
	v_add_f64 v[6:7], v[8:9], v[6:7]
	v_fma_f64 v[8:9], v[70:71], s[34:35], -v[205:206]
	v_add_f64 v[2:3], v[60:61], v[2:3]
	v_fma_f64 v[60:61], v[70:71], s[34:35], v[205:206]
	s_delay_alu instid0(VALU_DEP_3) | instskip(SKIP_1) | instid1(VALU_DEP_3)
	v_add_f64 v[4:5], v[8:9], v[4:5]
	v_fma_f64 v[8:9], v[68:69], s[34:35], v[207:208]
	v_add_f64 v[0:1], v[60:61], v[0:1]
	v_fma_f64 v[60:61], v[68:69], s[34:35], -v[207:208]
	s_delay_alu instid0(VALU_DEP_3) | instskip(NEXT) | instid1(VALU_DEP_2)
	v_add_f64 v[8:9], v[8:9], v[6:7]
	v_add_f64 v[209:210], v[60:61], v[2:3]
	;; [unrolled: 1-line block ×3, first 2 shown]
	s_delay_alu instid0(VALU_DEP_3)
	v_add_f64 v[56:57], v[10:11], v[8:9]
	v_fma_f64 v[8:9], v[158:159], s[16:17], v[100:101]
	v_fma_f64 v[10:11], v[154:155], s[16:17], -v[102:103]
	v_fma_f64 v[100:101], v[158:159], s[16:17], -v[100:101]
	v_fma_f64 v[102:103], v[154:155], s[16:17], v[102:103]
	v_fma_f64 v[2:3], v[60:61], s[24:25], v[211:212]
	v_fma_f64 v[6:7], v[60:61], s[24:25], -v[211:212]
	v_mul_f64 v[211:212], v[62:63], s[52:53]
	v_add_f64 v[8:9], v[8:9], v[171:172]
	v_mul_f64 v[171:172], v[156:157], s[26:27]
	v_add_f64 v[10:11], v[10:11], v[173:174]
	v_add_f64 v[100:101], v[100:101], v[175:176]
	;; [unrolled: 1-line block ×4, first 2 shown]
	v_fma_f64 v[0:1], v[164:165], s[24:25], -v[213:214]
	v_mul_f64 v[213:214], v[166:167], s[52:53]
	v_add_f64 v[58:59], v[6:7], v[4:5]
	scratch_load_b64 v[4:5], off, off offset:144 ; 8-byte Folded Reload
	v_fma_f64 v[173:174], v[150:151], s[24:25], v[171:172]
	v_fma_f64 v[171:172], v[150:151], s[24:25], -v[171:172]
	v_add_f64 v[64:65], v[0:1], v[209:210]
	v_fma_f64 v[175:176], v[164:165], s[34:35], v[213:214]
	v_mul_f64 v[0:1], v[132:133], s[40:41]
	v_add_f64 v[8:9], v[173:174], v[8:9]
	v_mul_f64 v[173:174], v[152:153], s[26:27]
	v_add_f64 v[100:101], v[171:172], v[100:101]
	s_delay_alu instid0(VALU_DEP_4) | instskip(SKIP_1) | instid1(VALU_DEP_4)
	v_fma_f64 v[2:3], v[108:109], s[12:13], v[0:1]
	v_fma_f64 v[0:1], v[108:109], s[12:13], -v[0:1]
	v_fma_f64 v[193:194], v[144:145], s[24:25], -v[173:174]
	v_fma_f64 v[171:172], v[144:145], s[24:25], v[173:174]
	s_delay_alu instid0(VALU_DEP_2) | instskip(SKIP_1) | instid1(VALU_DEP_3)
	v_add_f64 v[10:11], v[193:194], v[10:11]
	v_mul_f64 v[193:194], v[142:143], s[28:29]
	v_add_f64 v[102:103], v[171:172], v[102:103]
	s_delay_alu instid0(VALU_DEP_2) | instskip(SKIP_2) | instid1(VALU_DEP_3)
	v_fma_f64 v[195:196], v[140:141], s[14:15], v[193:194]
	v_fma_f64 v[171:172], v[140:141], s[14:15], -v[193:194]
	v_mul_f64 v[193:194], v[160:161], s[44:45]
	v_add_f64 v[8:9], v[195:196], v[8:9]
	v_mul_f64 v[195:196], v[132:133], s[28:29]
	s_delay_alu instid0(VALU_DEP_4) | instskip(NEXT) | instid1(VALU_DEP_4)
	v_add_f64 v[100:101], v[171:172], v[100:101]
	v_fma_f64 v[44:45], v[154:155], s[34:35], v[193:194]
	s_delay_alu instid0(VALU_DEP_3) | instskip(SKIP_2) | instid1(VALU_DEP_3)
	v_fma_f64 v[197:198], v[108:109], s[14:15], -v[195:196]
	v_fma_f64 v[171:172], v[108:109], s[14:15], v[195:196]
	v_mul_f64 v[195:196], v[156:157], s[30:31]
	v_add_f64 v[10:11], v[197:198], v[10:11]
	v_mul_f64 v[197:198], v[98:99], s[30:31]
	s_delay_alu instid0(VALU_DEP_4) | instskip(NEXT) | instid1(VALU_DEP_4)
	v_add_f64 v[102:103], v[171:172], v[102:103]
	v_fma_f64 v[177:178], v[150:151], s[0:1], v[195:196]
	s_waitcnt vmcnt(0)
	v_add_f64 v[36:37], v[36:37], v[4:5]
	s_delay_alu instid0(VALU_DEP_4) | instskip(SKIP_2) | instid1(VALU_DEP_3)
	v_fma_f64 v[199:200], v[92:93], s[0:1], v[197:198]
	v_fma_f64 v[171:172], v[92:93], s[0:1], -v[197:198]
	v_mul_f64 v[197:198], v[152:153], s[30:31]
	v_add_f64 v[8:9], v[199:200], v[8:9]
	v_mul_f64 v[199:200], v[94:95], s[30:31]
	s_delay_alu instid0(VALU_DEP_4) | instskip(NEXT) | instid1(VALU_DEP_2)
	v_add_f64 v[100:101], v[171:172], v[100:101]
	v_fma_f64 v[201:202], v[88:89], s[0:1], -v[199:200]
	v_fma_f64 v[171:172], v[88:89], s[0:1], v[199:200]
	v_mul_f64 v[199:200], v[142:143], s[22:23]
	s_delay_alu instid0(VALU_DEP_3) | instskip(SKIP_1) | instid1(VALU_DEP_4)
	v_add_f64 v[10:11], v[201:202], v[10:11]
	v_mul_f64 v[201:202], v[86:87], s[40:41]
	v_add_f64 v[102:103], v[171:172], v[102:103]
	s_delay_alu instid0(VALU_DEP_2) | instskip(SKIP_2) | instid1(VALU_DEP_3)
	v_fma_f64 v[203:204], v[82:83], s[12:13], v[201:202]
	v_fma_f64 v[171:172], v[82:83], s[12:13], -v[201:202]
	v_mul_f64 v[201:202], v[132:133], s[22:23]
	v_add_f64 v[8:9], v[203:204], v[8:9]
	v_mul_f64 v[203:204], v[84:85], s[40:41]
	s_delay_alu instid0(VALU_DEP_4) | instskip(NEXT) | instid1(VALU_DEP_4)
	v_add_f64 v[100:101], v[171:172], v[100:101]
	v_fma_f64 v[110:111], v[108:109], s[10:11], v[201:202]
	s_delay_alu instid0(VALU_DEP_3) | instskip(SKIP_2) | instid1(VALU_DEP_3)
	v_fma_f64 v[205:206], v[80:81], s[12:13], -v[203:204]
	v_fma_f64 v[171:172], v[80:81], s[12:13], v[203:204]
	v_mul_f64 v[203:204], v[98:99], s[38:39]
	v_add_f64 v[10:11], v[205:206], v[10:11]
	v_mul_f64 v[205:206], v[74:75], s[18:19]
	s_delay_alu instid0(VALU_DEP_4) | instskip(NEXT) | instid1(VALU_DEP_2)
	v_add_f64 v[102:103], v[171:172], v[102:103]
	v_fma_f64 v[207:208], v[70:71], s[8:9], v[205:206]
	v_fma_f64 v[171:172], v[70:71], s[8:9], -v[205:206]
	v_mul_f64 v[205:206], v[94:95], s[38:39]
	s_delay_alu instid0(VALU_DEP_3) | instskip(SKIP_1) | instid1(VALU_DEP_4)
	v_add_f64 v[8:9], v[207:208], v[8:9]
	v_mul_f64 v[207:208], v[72:73], s[18:19]
	v_add_f64 v[100:101], v[171:172], v[100:101]
	s_delay_alu instid0(VALU_DEP_2) | instskip(SKIP_2) | instid1(VALU_DEP_3)
	v_fma_f64 v[171:172], v[68:69], s[8:9], v[207:208]
	v_fma_f64 v[209:210], v[68:69], s[8:9], -v[207:208]
	v_mul_f64 v[207:208], v[86:87], s[54:55]
	v_add_f64 v[102:103], v[171:172], v[102:103]
	v_fma_f64 v[171:172], v[60:61], s[34:35], -v[211:212]
	s_delay_alu instid0(VALU_DEP_4) | instskip(SKIP_2) | instid1(VALU_DEP_4)
	v_add_f64 v[209:210], v[209:210], v[10:11]
	v_fma_f64 v[10:11], v[60:61], s[34:35], v[211:212]
	v_mul_f64 v[211:212], v[74:75], s[40:41]
	v_add_f64 v[173:174], v[171:172], v[100:101]
	v_mul_f64 v[100:101], v[162:163], s[44:45]
	v_add_f64 v[171:172], v[175:176], v[102:103]
	v_fma_f64 v[175:176], v[154:155], s[34:35], -v[193:194]
	v_add_f64 v[136:137], v[10:11], v[8:9]
	v_fma_f64 v[8:9], v[164:165], s[34:35], -v[213:214]
	v_mul_f64 v[213:214], v[72:73], s[40:41]
	v_fma_f64 v[10:11], v[82:83], s[34:35], -v[16:17]
	v_fma_f64 v[102:103], v[158:159], s[34:35], v[100:101]
	v_add_f64 v[175:176], v[175:176], v[181:182]
	v_fma_f64 v[181:182], v[154:155], s[8:9], v[219:220]
	v_add_f64 v[134:135], v[8:9], v[209:210]
	v_mul_f64 v[209:210], v[84:85], s[54:55]
	v_mul_f64 v[8:9], v[98:99], s[48:49]
	v_add_f64 v[102:103], v[102:103], v[179:180]
	v_add_f64 v[181:182], v[181:182], v[185:186]
	s_delay_alu instid0(VALU_DEP_3)
	v_fma_f64 v[6:7], v[92:93], s[10:11], -v[8:9]
	v_fma_f64 v[4:5], v[92:93], s[10:11], v[8:9]
	v_fma_f64 v[8:9], v[82:83], s[34:35], v[16:17]
	;; [unrolled: 1-line block ×3, first 2 shown]
	v_add_f64 v[102:103], v[177:178], v[102:103]
	v_fma_f64 v[177:178], v[144:145], s[0:1], -v[197:198]
	s_delay_alu instid0(VALU_DEP_1) | instskip(SKIP_1) | instid1(VALU_DEP_1)
	v_add_f64 v[175:176], v[177:178], v[175:176]
	v_fma_f64 v[177:178], v[140:141], s[10:11], v[199:200]
	v_add_f64 v[102:103], v[177:178], v[102:103]
	v_fma_f64 v[177:178], v[108:109], s[10:11], -v[201:202]
	s_delay_alu instid0(VALU_DEP_1) | instskip(SKIP_1) | instid1(VALU_DEP_1)
	v_add_f64 v[175:176], v[177:178], v[175:176]
	v_fma_f64 v[177:178], v[92:93], s[24:25], v[203:204]
	;; [unrolled: 5-line block ×5, first 2 shown]
	v_add_f64 v[177:178], v[177:178], v[102:103]
	v_mul_f64 v[102:103], v[166:167], s[50:51]
	s_delay_alu instid0(VALU_DEP_1) | instskip(NEXT) | instid1(VALU_DEP_1)
	v_fma_f64 v[179:180], v[164:165], s[16:17], -v[102:103]
	v_add_f64 v[175:176], v[179:180], v[175:176]
	v_fma_f64 v[179:180], v[158:159], s[8:9], -v[217:218]
	v_fma_f64 v[217:218], v[144:145], s[14:15], -v[227:228]
	s_delay_alu instid0(VALU_DEP_2) | instskip(SKIP_1) | instid1(VALU_DEP_3)
	v_add_f64 v[179:180], v[179:180], v[183:184]
	v_fma_f64 v[183:184], v[150:151], s[16:17], -v[221:222]
	v_add_f64 v[76:77], v[217:218], v[76:77]
	s_delay_alu instid0(VALU_DEP_2) | instskip(SKIP_1) | instid1(VALU_DEP_3)
	v_add_f64 v[179:180], v[183:184], v[179:180]
	v_fma_f64 v[183:184], v[144:145], s[16:17], v[223:224]
	v_add_f64 v[0:1], v[0:1], v[76:77]
	v_fma_f64 v[76:77], v[92:93], s[24:25], -v[203:204]
	s_delay_alu instid0(VALU_DEP_3) | instskip(SKIP_1) | instid1(VALU_DEP_1)
	v_add_f64 v[181:182], v[183:184], v[181:182]
	v_fma_f64 v[183:184], v[140:141], s[24:25], -v[225:226]
	v_add_f64 v[179:180], v[183:184], v[179:180]
	v_fma_f64 v[183:184], v[108:109], s[24:25], v[232:233]
	s_delay_alu instid0(VALU_DEP_1) | instskip(SKIP_1) | instid1(VALU_DEP_1)
	v_add_f64 v[181:182], v[183:184], v[181:182]
	v_fma_f64 v[183:184], v[92:93], s[34:35], -v[234:235]
	v_add_f64 v[179:180], v[183:184], v[179:180]
	v_fma_f64 v[183:184], v[88:89], s[34:35], v[236:237]
	s_delay_alu instid0(VALU_DEP_1) | instskip(SKIP_1) | instid1(VALU_DEP_1)
	;; [unrolled: 5-line block ×6, first 2 shown]
	v_add_f64 v[183:184], v[183:184], v[191:192]
	v_mul_f64 v[191:192], v[156:157], s[20:21]
	v_fma_f64 v[185:186], v[150:151], s[14:15], -v[191:192]
	s_delay_alu instid0(VALU_DEP_1) | instskip(SKIP_1) | instid1(VALU_DEP_1)
	v_add_f64 v[168:169], v[185:186], v[168:169]
	v_fma_f64 v[185:186], v[144:145], s[14:15], v[227:228]
	v_add_f64 v[183:184], v[185:186], v[183:184]
	v_fma_f64 v[185:186], v[140:141], s[12:13], -v[229:230]
	v_mov_b32_e32 v230, v170
	s_delay_alu instid0(VALU_DEP_3) | instskip(NEXT) | instid1(VALU_DEP_3)
	v_add_f64 v[2:3], v[2:3], v[183:184]
	v_add_f64 v[168:169], v[185:186], v[168:169]
	s_delay_alu instid0(VALU_DEP_1) | instskip(SKIP_1) | instid1(VALU_DEP_2)
	v_add_f64 v[6:7], v[6:7], v[168:169]
	v_mul_f64 v[168:169], v[94:95], s[48:49]
	v_add_f64 v[6:7], v[10:11], v[6:7]
	s_delay_alu instid0(VALU_DEP_2) | instskip(SKIP_1) | instid1(VALU_DEP_2)
	v_fma_f64 v[183:184], v[88:89], s[10:11], v[168:169]
	v_mul_f64 v[10:11], v[84:85], s[44:45]
	v_add_f64 v[2:3], v[183:184], v[2:3]
	s_delay_alu instid0(VALU_DEP_2) | instskip(SKIP_1) | instid1(VALU_DEP_2)
	v_fma_f64 v[183:184], v[80:81], s[34:35], v[10:11]
	v_fma_f64 v[10:11], v[80:81], s[34:35], -v[10:11]
	v_add_f64 v[2:3], v[183:184], v[2:3]
	v_fma_f64 v[183:184], v[70:71], s[16:17], -v[18:19]
	v_fma_f64 v[18:19], v[68:69], s[16:17], -v[20:21]
	s_delay_alu instid0(VALU_DEP_2) | instskip(SKIP_1) | instid1(VALU_DEP_1)
	v_add_f64 v[6:7], v[183:184], v[6:7]
	v_fma_f64 v[183:184], v[68:69], s[16:17], v[20:21]
	v_add_f64 v[2:3], v[183:184], v[2:3]
	v_fma_f64 v[183:184], v[60:61], s[0:1], -v[52:53]
	s_delay_alu instid0(VALU_DEP_1) | instskip(SKIP_1) | instid1(VALU_DEP_1)
	v_add_f64 v[185:186], v[183:184], v[6:7]
	v_mul_f64 v[6:7], v[166:167], s[42:43]
	v_fma_f64 v[183:184], v[164:165], s[0:1], v[6:7]
	v_fma_f64 v[6:7], v[164:165], s[0:1], -v[6:7]
	s_delay_alu instid0(VALU_DEP_2) | instskip(SKIP_3) | instid1(VALU_DEP_3)
	v_add_f64 v[183:184], v[183:184], v[2:3]
	v_add_f64 v[2:3], v[146:147], v[96:97]
	v_fma_f64 v[146:147], v[150:151], s[0:1], -v[195:196]
	v_mul_f64 v[96:97], v[156:157], s[44:45]
	v_add_f64 v[2:3], v[2:3], v[112:113]
	v_mul_f64 v[112:113], v[142:143], s[44:45]
	s_delay_alu instid0(VALU_DEP_2) | instskip(SKIP_1) | instid1(VALU_DEP_2)
	v_add_f64 v[2:3], v[2:3], v[104:105]
	v_mul_f64 v[104:105], v[142:143], s[36:37]
	v_add_f64 v[2:3], v[2:3], v[46:47]
	s_delay_alu instid0(VALU_DEP_2) | instskip(SKIP_1) | instid1(VALU_DEP_3)
	v_fma_f64 v[116:117], v[140:141], s[16:17], v[104:105]
	v_fma_f64 v[104:105], v[140:141], s[16:17], -v[104:105]
	v_add_f64 v[2:3], v[2:3], v[38:39]
	v_mul_f64 v[38:39], v[160:161], s[48:49]
	v_mul_f64 v[160:161], v[152:153], s[18:19]
	s_delay_alu instid0(VALU_DEP_3) | instskip(SKIP_1) | instid1(VALU_DEP_4)
	v_add_f64 v[2:3], v[2:3], v[26:27]
	v_fma_f64 v[26:27], v[158:159], s[34:35], -v[100:101]
	v_fma_f64 v[46:47], v[154:155], s[10:11], -v[38:39]
	v_fma_f64 v[38:39], v[154:155], s[10:11], v[38:39]
	v_fma_f64 v[193:194], v[144:145], s[8:9], -v[160:161]
	v_fma_f64 v[160:161], v[144:145], s[8:9], v[160:161]
	v_mul_f64 v[100:101], v[156:157], s[46:47]
	v_add_f64 v[2:3], v[2:3], v[187:188]
	v_add_f64 v[26:27], v[26:27], v[54:55]
	scratch_load_b64 v[54:55], off, off offset:32 ; 8-byte Folded Reload
	v_fma_f64 v[156:157], v[150:151], s[12:13], -v[100:101]
	v_fma_f64 v[100:101], v[150:151], s[12:13], v[100:101]
	v_add_f64 v[2:3], v[2:3], v[14:15]
	scratch_load_b64 v[14:15], off, off offset:8 ; 8-byte Folded Reload
	v_add_f64 v[26:27], v[146:147], v[26:27]
	v_add_f64 v[2:3], v[2:3], v[32:33]
	v_fma_f64 v[32:33], v[158:159], s[14:15], -v[24:25]
	v_fma_f64 v[24:25], v[158:159], s[14:15], v[24:25]
	s_delay_alu instid0(VALU_DEP_3) | instskip(SKIP_2) | instid1(VALU_DEP_4)
	v_add_f64 v[2:3], v[2:3], v[48:49]
	v_fma_f64 v[48:49], v[154:155], s[12:13], -v[40:41]
	v_fma_f64 v[40:41], v[154:155], s[12:13], v[40:41]
	v_add_f64 v[24:25], v[24:25], v[128:129]
	v_add_f64 v[32:33], v[32:33], v[124:125]
	v_fma_f64 v[124:125], v[140:141], s[24:25], v[225:226]
	v_add_f64 v[2:3], v[2:3], v[106:107]
	v_mul_f64 v[106:107], v[142:143], s[42:43]
	v_add_f64 v[40:41], v[40:41], v[120:121]
	v_add_f64 v[24:25], v[100:101], v[24:25]
	v_mul_f64 v[100:101], v[132:133], s[44:45]
	v_fma_f64 v[120:121], v[140:141], s[34:35], -v[112:113]
	v_fma_f64 v[112:113], v[140:141], s[34:35], v[112:113]
	v_add_f64 v[32:33], v[156:157], v[32:33]
	v_add_f64 v[2:3], v[2:3], v[114:115]
	v_fma_f64 v[114:115], v[140:141], s[10:11], -v[199:200]
	v_fma_f64 v[130:131], v[108:109], s[34:35], v[100:101]
	v_fma_f64 v[100:101], v[108:109], s[34:35], -v[100:101]
	v_add_f64 v[24:25], v[112:113], v[24:25]
	v_add_f64 v[32:33], v[120:121], v[32:33]
	;; [unrolled: 1-line block ×3, first 2 shown]
	v_fma_f64 v[34:35], v[158:159], s[24:25], v[250:251]
	v_add_f64 v[26:27], v[114:115], v[26:27]
	v_fma_f64 v[114:115], v[88:89], s[10:11], -v[168:169]
	s_delay_alu instid0(VALU_DEP_4)
	v_add_f64 v[2:3], v[2:3], v[78:79]
	v_fma_f64 v[78:79], v[154:155], s[8:9], -v[219:220]
	v_fma_f64 v[154:155], v[150:151], s[34:35], v[96:97]
	v_fma_f64 v[96:97], v[150:151], s[34:35], -v[96:97]
	v_add_f64 v[34:35], v[34:35], v[118:119]
	v_fma_f64 v[118:119], v[140:141], s[0:1], v[106:107]
	v_fma_f64 v[106:107], v[140:141], s[0:1], -v[106:107]
	v_add_f64 v[26:27], v[76:77], v[26:27]
	v_fma_f64 v[76:77], v[88:89], s[24:25], v[205:206]
	v_add_f64 v[0:1], v[114:115], v[0:1]
	v_add_f64 v[78:79], v[78:79], v[126:127]
	v_add_f64 v[22:23], v[96:97], v[22:23]
	v_mul_f64 v[96:97], v[132:133], s[42:43]
	s_delay_alu instid0(VALU_DEP_4)
	v_add_f64 v[0:1], v[10:11], v[0:1]
	v_mul_f64 v[10:11], v[74:75], s[26:27]
	s_waitcnt vmcnt(1)
	v_add_f64 v[44:45], v[44:45], v[54:55]
	scratch_load_b64 v[54:55], off, off offset:48 ; 8-byte Folded Reload
	v_add_f64 v[22:23], v[106:107], v[22:23]
	v_fma_f64 v[128:129], v[108:109], s[0:1], -v[96:97]
	v_fma_f64 v[96:97], v[108:109], s[0:1], v[96:97]
	v_mul_f64 v[106:107], v[94:95], s[36:37]
	v_add_f64 v[0:1], v[18:19], v[0:1]
	s_waitcnt vmcnt(1)
	v_add_f64 v[14:15], v[2:3], v[14:15]
	v_mul_f64 v[2:3], v[162:163], s[48:49]
	v_mul_f64 v[162:163], v[152:153], s[44:45]
	;; [unrolled: 1-line block ×3, first 2 shown]
	s_delay_alu instid0(VALU_DEP_3)
	v_fma_f64 v[28:29], v[158:159], s[10:11], v[2:3]
	v_fma_f64 v[2:3], v[158:159], s[10:11], -v[2:3]
	v_fma_f64 v[158:159], v[150:151], s[14:15], v[191:192]
	v_fma_f64 v[191:192], v[144:145], s[0:1], v[197:198]
	v_fma_f64 v[195:196], v[144:145], s[34:35], -v[162:163]
	v_fma_f64 v[162:163], v[144:145], s[34:35], v[162:163]
	;; [unrolled: 3-line block ×3, first 2 shown]
	v_fma_f64 v[144:145], v[144:145], s[16:17], -v[223:224]
	v_add_f64 v[34:35], v[158:159], v[34:35]
	v_add_f64 v[44:45], v[191:192], v[44:45]
	;; [unrolled: 1-line block ×7, first 2 shown]
	v_mov_b32_e32 v144, v255
	v_add_f64 v[34:35], v[122:123], v[34:35]
	v_add_f64 v[44:45], v[110:111], v[44:45]
	v_fma_f64 v[110:111], v[88:89], s[16:17], -v[106:107]
	v_add_f64 v[40:41], v[96:97], v[40:41]
	v_fma_f64 v[106:107], v[88:89], s[16:17], v[106:107]
	v_add_f64 v[42:43], v[100:101], v[42:43]
	v_add_f64 v[36:37], v[124:125], v[36:37]
	;; [unrolled: 1-line block ×4, first 2 shown]
	v_mul_f64 v[34:35], v[86:87], s[30:31]
	v_add_f64 v[44:45], v[76:77], v[44:45]
	v_mul_f64 v[76:77], v[98:99], s[40:41]
	v_add_f64 v[40:41], v[106:107], v[40:41]
	v_add_f64 v[4:5], v[8:9], v[4:5]
	v_mul_f64 v[8:9], v[74:75], s[28:29]
	s_delay_alu instid0(VALU_DEP_2) | instskip(SKIP_4) | instid1(VALU_DEP_1)
	v_add_f64 v[4:5], v[16:17], v[4:5]
	s_waitcnt vmcnt(0)
	v_add_f64 v[28:29], v[28:29], v[54:55]
	scratch_load_b64 v[54:55], off, off offset:64 ; 8-byte Folded Reload
	v_add_f64 v[28:29], v[148:149], v[28:29]
	v_add_f64 v[28:29], v[116:117], v[28:29]
	s_waitcnt vmcnt(0)
	v_add_f64 v[46:47], v[46:47], v[54:55]
	scratch_load_b64 v[54:55], off, off offset:80 ; 8-byte Folded Reload
	v_add_f64 v[46:47], v[193:194], v[46:47]
	s_waitcnt vmcnt(0)
	v_add_f64 v[2:3], v[2:3], v[54:55]
	scratch_load_b64 v[54:55], off, off offset:96 ; 8-byte Folded Reload
	v_add_f64 v[2:3], v[90:91], v[2:3]
	v_mul_f64 v[90:91], v[132:133], s[36:37]
	s_delay_alu instid0(VALU_DEP_2) | instskip(NEXT) | instid1(VALU_DEP_2)
	v_add_f64 v[2:3], v[104:105], v[2:3]
	v_fma_f64 v[126:127], v[108:109], s[16:17], -v[90:91]
	v_fma_f64 v[90:91], v[108:109], s[16:17], v[90:91]
	v_fma_f64 v[108:109], v[108:109], s[24:25], -v[232:233]
	s_delay_alu instid0(VALU_DEP_3) | instskip(NEXT) | instid1(VALU_DEP_2)
	v_add_f64 v[46:47], v[126:127], v[46:47]
	v_add_f64 v[78:79], v[108:109], v[78:79]
	s_waitcnt vmcnt(0)
	v_add_f64 v[38:39], v[38:39], v[54:55]
	scratch_load_b64 v[54:55], off, off offset:112 ; 8-byte Folded Reload
	v_add_f64 v[38:39], v[160:161], v[38:39]
	s_delay_alu instid0(VALU_DEP_1) | instskip(SKIP_2) | instid1(VALU_DEP_2)
	v_add_f64 v[38:39], v[90:91], v[38:39]
	v_fma_f64 v[90:91], v[92:93], s[12:13], v[76:77]
	v_fma_f64 v[76:77], v[92:93], s[12:13], -v[76:77]
	v_add_f64 v[28:29], v[90:91], v[28:29]
	v_mul_f64 v[90:91], v[94:95], s[40:41]
	s_delay_alu instid0(VALU_DEP_3) | instskip(SKIP_1) | instid1(VALU_DEP_3)
	v_add_f64 v[2:3], v[76:77], v[2:3]
	v_mul_f64 v[94:95], v[94:95], s[18:19]
	v_fma_f64 v[76:77], v[88:89], s[12:13], v[90:91]
	v_fma_f64 v[96:97], v[88:89], s[12:13], -v[90:91]
	s_delay_alu instid0(VALU_DEP_3)
	v_fma_f64 v[112:113], v[88:89], s[8:9], v[94:95]
	v_fma_f64 v[94:95], v[88:89], s[8:9], -v[94:95]
	v_fma_f64 v[88:89], v[88:89], s[34:35], -v[236:237]
	v_add_f64 v[38:39], v[76:77], v[38:39]
	v_mul_f64 v[76:77], v[98:99], s[36:37]
	v_add_f64 v[46:47], v[96:97], v[46:47]
	v_mul_f64 v[98:99], v[98:99], s[18:19]
	v_add_f64 v[42:43], v[94:95], v[42:43]
	v_add_f64 v[78:79], v[88:89], v[78:79]
	;; [unrolled: 1-line block ×3, first 2 shown]
	v_fma_f64 v[88:89], v[164:165], s[12:13], -v[248:249]
	v_fma_f64 v[90:91], v[92:93], s[16:17], v[76:77]
	v_fma_f64 v[76:77], v[92:93], s[16:17], -v[76:77]
	s_delay_alu instid0(VALU_DEP_1) | instskip(SKIP_4) | instid1(VALU_DEP_1)
	v_add_f64 v[22:23], v[76:77], v[22:23]
	s_waitcnt vmcnt(0)
	v_add_f64 v[30:31], v[30:31], v[54:55]
	scratch_load_b64 v[54:55], off, off offset:128 ; 8-byte Folded Reload
	v_add_f64 v[30:31], v[154:155], v[30:31]
	v_add_f64 v[30:31], v[118:119], v[30:31]
	s_delay_alu instid0(VALU_DEP_1) | instskip(SKIP_1) | instid1(VALU_DEP_1)
	v_add_f64 v[30:31], v[90:91], v[30:31]
	v_fma_f64 v[90:91], v[82:83], s[8:9], -v[207:208]
	v_add_f64 v[26:27], v[90:91], v[26:27]
	v_fma_f64 v[90:91], v[80:81], s[8:9], v[209:210]
	s_delay_alu instid0(VALU_DEP_1) | instskip(SKIP_1) | instid1(VALU_DEP_1)
	v_add_f64 v[44:45], v[90:91], v[44:45]
	v_mul_f64 v[90:91], v[86:87], s[38:39]
	v_fma_f64 v[96:97], v[82:83], s[24:25], v[90:91]
	v_fma_f64 v[90:91], v[82:83], s[24:25], -v[90:91]
	s_delay_alu instid0(VALU_DEP_2) | instskip(SKIP_1) | instid1(VALU_DEP_3)
	v_add_f64 v[28:29], v[96:97], v[28:29]
	v_mul_f64 v[96:97], v[84:85], s[38:39]
	v_add_f64 v[2:3], v[90:91], v[2:3]
	s_delay_alu instid0(VALU_DEP_2) | instskip(SKIP_3) | instid1(VALU_DEP_3)
	v_fma_f64 v[90:91], v[80:81], s[24:25], v[96:97]
	v_fma_f64 v[100:101], v[80:81], s[24:25], -v[96:97]
	s_waitcnt vmcnt(0)
	v_add_f64 v[48:49], v[48:49], v[54:55]
	v_add_f64 v[38:39], v[90:91], v[38:39]
	v_mul_f64 v[90:91], v[86:87], s[22:23]
	s_delay_alu instid0(VALU_DEP_4)
	v_add_f64 v[46:47], v[100:101], v[46:47]
	v_fma_f64 v[86:87], v[82:83], s[0:1], -v[34:35]
	v_fma_f64 v[34:35], v[82:83], s[0:1], v[34:35]
	v_add_f64 v[48:49], v[195:196], v[48:49]
	v_fma_f64 v[96:97], v[82:83], s[10:11], v[90:91]
	v_fma_f64 v[76:77], v[82:83], s[10:11], -v[90:91]
	v_mul_f64 v[90:91], v[84:85], s[22:23]
	v_mul_f64 v[84:85], v[84:85], s[30:31]
	v_fma_f64 v[82:83], v[82:83], s[14:15], v[238:239]
	v_add_f64 v[48:49], v[128:129], v[48:49]
	v_add_f64 v[30:31], v[96:97], v[30:31]
	v_fma_f64 v[96:97], v[70:71], s[12:13], -v[211:212]
	v_add_f64 v[22:23], v[76:77], v[22:23]
	v_fma_f64 v[94:95], v[80:81], s[0:1], v[84:85]
	v_fma_f64 v[84:85], v[80:81], s[0:1], -v[84:85]
	v_fma_f64 v[76:77], v[70:71], s[24:25], -v[10:11]
	v_fma_f64 v[10:11], v[70:71], s[24:25], v[10:11]
	v_add_f64 v[48:49], v[110:111], v[48:49]
	v_add_f64 v[26:27], v[96:97], v[26:27]
	v_fma_f64 v[96:97], v[68:69], s[12:13], v[213:214]
	v_add_f64 v[50:51], v[94:95], v[50:51]
	s_delay_alu instid0(VALU_DEP_2) | instskip(SKIP_3) | instid1(VALU_DEP_3)
	v_add_f64 v[44:45], v[96:97], v[44:45]
	v_mul_f64 v[96:97], v[74:75], s[30:31]
	v_fma_f64 v[74:75], v[70:71], s[14:15], v[8:9]
	v_fma_f64 v[8:9], v[70:71], s[14:15], -v[8:9]
	v_fma_f64 v[100:101], v[70:71], s[0:1], v[96:97]
	s_delay_alu instid0(VALU_DEP_2) | instskip(SKIP_1) | instid1(VALU_DEP_3)
	v_add_f64 v[8:9], v[8:9], v[22:23]
	v_mul_f64 v[22:23], v[62:63], s[20:21]
	v_add_f64 v[100:101], v[100:101], v[28:29]
	v_mul_f64 v[28:29], v[72:73], s[30:31]
	s_delay_alu instid0(VALU_DEP_1) | instskip(SKIP_1) | instid1(VALU_DEP_2)
	v_fma_f64 v[104:105], v[68:69], s[0:1], -v[28:29]
	v_fma_f64 v[28:29], v[68:69], s[0:1], v[28:29]
	v_add_f64 v[46:47], v[104:105], v[46:47]
	v_fma_f64 v[104:105], v[92:93], s[8:9], -v[98:99]
	v_fma_f64 v[98:99], v[92:93], s[8:9], v[98:99]
	v_fma_f64 v[92:93], v[92:93], s[34:35], v[234:235]
	v_add_f64 v[38:39], v[28:29], v[38:39]
	s_delay_alu instid0(VALU_DEP_4) | instskip(NEXT) | instid1(VALU_DEP_4)
	v_add_f64 v[32:33], v[104:105], v[32:33]
	v_add_f64 v[24:25], v[98:99], v[24:25]
	s_delay_alu instid0(VALU_DEP_4)
	v_add_f64 v[36:37], v[92:93], v[36:37]
	v_fma_f64 v[92:93], v[80:81], s[10:11], -v[90:91]
	v_fma_f64 v[90:91], v[80:81], s[10:11], v[90:91]
	v_fma_f64 v[80:81], v[80:81], s[14:15], -v[240:241]
	v_add_f64 v[32:33], v[86:87], v[32:33]
	v_add_f64 v[24:25], v[34:35], v[24:25]
	;; [unrolled: 1-line block ×3, first 2 shown]
	v_fma_f64 v[42:43], v[70:71], s[0:1], -v[96:97]
	v_add_f64 v[36:37], v[82:83], v[36:37]
	v_add_f64 v[78:79], v[80:81], v[78:79]
	v_fma_f64 v[80:81], v[164:165], s[16:17], v[102:103]
	v_mul_f64 v[82:83], v[72:73], s[28:29]
	v_mul_f64 v[72:73], v[72:73], s[26:27]
	v_add_f64 v[40:41], v[90:91], v[40:41]
	v_fma_f64 v[70:71], v[70:71], s[10:11], v[242:243]
	v_add_f64 v[48:49], v[92:93], v[48:49]
	v_add_f64 v[28:29], v[76:77], v[32:33]
	v_fma_f64 v[76:77], v[60:61], s[16:17], -v[215:216]
	v_add_f64 v[10:11], v[10:11], v[24:25]
	v_add_f64 v[2:3], v[42:43], v[2:3]
	;; [unrolled: 1-line block ×3, first 2 shown]
	v_mul_f64 v[30:31], v[62:63], s[18:19]
	v_mul_f64 v[74:75], v[166:167], s[22:23]
	v_fma_f64 v[84:85], v[68:69], s[14:15], -v[82:83]
	v_fma_f64 v[86:87], v[68:69], s[24:25], v[72:73]
	v_fma_f64 v[82:83], v[68:69], s[14:15], v[82:83]
	v_mul_f64 v[24:25], v[166:167], s[18:19]
	v_fma_f64 v[72:73], v[68:69], s[24:25], -v[72:73]
	v_fma_f64 v[68:69], v[68:69], s[10:11], -v[244:245]
	v_add_f64 v[18:19], v[76:77], v[26:27]
	v_fma_f64 v[16:17], v[60:61], s[8:9], -v[30:31]
	v_add_f64 v[48:49], v[84:85], v[48:49]
	v_add_f64 v[32:33], v[86:87], v[50:51]
	v_mul_f64 v[50:51], v[62:63], s[22:23]
	v_mul_f64 v[62:63], v[166:167], s[20:21]
	v_add_f64 v[40:41], v[82:83], v[40:41]
	v_fma_f64 v[82:83], v[60:61], s[8:9], v[30:31]
	v_add_f64 v[72:73], v[72:73], v[34:35]
	v_fma_f64 v[34:35], v[60:61], s[14:15], v[22:23]
	v_fma_f64 v[22:23], v[60:61], s[14:15], -v[22:23]
	v_fma_f64 v[84:85], v[60:61], s[0:1], v[52:53]
	v_add_f64 v[68:69], v[68:69], v[78:79]
	v_add_f64 v[26:27], v[16:17], v[8:9]
	;; [unrolled: 1-line block ×4, first 2 shown]
	s_clause 0x1
	scratch_load_b32 v0, off, off offset:4
	scratch_load_b32 v1, off, off offset:1036
	v_fma_f64 v[30:31], v[60:61], s[10:11], -v[50:51]
	v_fma_f64 v[86:87], v[164:165], s[14:15], -v[62:63]
	v_fma_f64 v[20:21], v[164:165], s[14:15], v[62:63]
	v_add_f64 v[62:63], v[70:71], v[36:37]
	v_fma_f64 v[70:71], v[164:165], s[10:11], v[74:75]
	v_fma_f64 v[36:37], v[164:165], s[8:9], -v[24:25]
	v_fma_f64 v[24:25], v[164:165], s[8:9], v[24:25]
	v_fma_f64 v[50:51], v[60:61], s[10:11], v[50:51]
	v_fma_f64 v[74:75], v[164:165], s[10:11], -v[74:75]
	v_fma_f64 v[60:61], v[60:61], s[12:13], v[246:247]
	v_add_f64 v[22:23], v[22:23], v[2:3]
	v_add_f64 v[34:35], v[34:35], v[100:101]
	;; [unrolled: 1-line block ×14, first 2 shown]
	s_waitcnt vmcnt(0)
	v_lshl_add_u32 v0, v1, 4, v0
	ds_store_b128 v0, v[12:15] offset:7616
	ds_store_b128 v0, v[179:182] offset:7728
	;; [unrolled: 1-line block ×17, first 2 shown]
.LBB0_9:
	s_or_b32 exec_lo, exec_lo, s33
	s_waitcnt lgkmcnt(0)
	s_waitcnt_vscnt null, 0x0
	s_barrier
	buffer_gl0_inv
	s_clause 0x3
	scratch_load_b128 v[6:9], off, off offset:304
	scratch_load_b128 v[18:21], off, off offset:320
	scratch_load_b128 v[10:13], off, off offset:288
	scratch_load_b128 v[14:17], off, off offset:272
	ds_load_b128 v[0:3], v252 offset:1904
	scratch_load_b128 v[22:25], off, off offset:368 ; 16-byte Folded Reload
	s_mov_b32 s10, 0x134454ff
	s_mov_b32 s11, 0xbfee6f0e
	;; [unrolled: 1-line block ×10, first 2 shown]
	s_waitcnt vmcnt(4) lgkmcnt(0)
	v_mul_f64 v[4:5], v[8:9], v[2:3]
	s_delay_alu instid0(VALU_DEP_1) | instskip(SKIP_1) | instid1(VALU_DEP_1)
	v_fma_f64 v[4:5], v[6:7], v[0:1], v[4:5]
	v_mul_f64 v[0:1], v[8:9], v[0:1]
	v_fma_f64 v[6:7], v[6:7], v[2:3], -v[0:1]
	ds_load_b128 v[0:3], v252 offset:3808
	s_waitcnt vmcnt(2) lgkmcnt(0)
	v_mul_f64 v[8:9], v[12:13], v[2:3]
	s_delay_alu instid0(VALU_DEP_1) | instskip(SKIP_1) | instid1(VALU_DEP_1)
	v_fma_f64 v[8:9], v[10:11], v[0:1], v[8:9]
	v_mul_f64 v[0:1], v[12:13], v[0:1]
	v_fma_f64 v[10:11], v[10:11], v[2:3], -v[0:1]
	ds_load_b128 v[0:3], v252 offset:5712
	s_waitcnt vmcnt(1) lgkmcnt(0)
	v_mul_f64 v[12:13], v[16:17], v[2:3]
	s_delay_alu instid0(VALU_DEP_1) | instskip(SKIP_1) | instid1(VALU_DEP_2)
	v_fma_f64 v[12:13], v[14:15], v[0:1], v[12:13]
	v_mul_f64 v[0:1], v[16:17], v[0:1]
	v_add_f64 v[118:119], v[8:9], -v[12:13]
	s_delay_alu instid0(VALU_DEP_2) | instskip(SKIP_4) | instid1(VALU_DEP_2)
	v_fma_f64 v[14:15], v[14:15], v[2:3], -v[0:1]
	ds_load_b128 v[0:3], v252 offset:7616
	s_waitcnt lgkmcnt(0)
	v_mul_f64 v[16:17], v[20:21], v[2:3]
	v_add_f64 v[34:35], v[10:11], -v[14:15]
	v_fma_f64 v[16:17], v[18:19], v[0:1], v[16:17]
	v_mul_f64 v[0:1], v[20:21], v[0:1]
	s_delay_alu instid0(VALU_DEP_2) | instskip(NEXT) | instid1(VALU_DEP_2)
	v_add_f64 v[116:117], v[4:5], -v[16:17]
	v_fma_f64 v[18:19], v[18:19], v[2:3], -v[0:1]
	ds_load_b128 v[0:3], v252 offset:2176
	s_waitcnt vmcnt(0) lgkmcnt(0)
	v_mul_f64 v[20:21], v[24:25], v[2:3]
	v_add_f64 v[32:33], v[6:7], -v[18:19]
	s_delay_alu instid0(VALU_DEP_2) | instskip(SKIP_1) | instid1(VALU_DEP_1)
	v_fma_f64 v[124:125], v[22:23], v[0:1], v[20:21]
	v_mul_f64 v[0:1], v[24:25], v[0:1]
	v_fma_f64 v[128:129], v[22:23], v[2:3], -v[0:1]
	scratch_load_b128 v[22:25], off, off offset:352 ; 16-byte Folded Reload
	ds_load_b128 v[0:3], v252 offset:4080
	s_waitcnt vmcnt(0) lgkmcnt(0)
	v_mul_f64 v[20:21], v[24:25], v[2:3]
	s_delay_alu instid0(VALU_DEP_1) | instskip(SKIP_1) | instid1(VALU_DEP_1)
	v_fma_f64 v[126:127], v[22:23], v[0:1], v[20:21]
	v_mul_f64 v[0:1], v[24:25], v[0:1]
	v_fma_f64 v[130:131], v[22:23], v[2:3], -v[0:1]
	scratch_load_b128 v[22:25], off, off offset:336 ; 16-byte Folded Reload
	ds_load_b128 v[0:3], v252 offset:5984
	s_waitcnt vmcnt(0) lgkmcnt(0)
	v_mul_f64 v[20:21], v[24:25], v[2:3]
	s_delay_alu instid0(VALU_DEP_1) | instskip(SKIP_1) | instid1(VALU_DEP_2)
	v_fma_f64 v[132:133], v[22:23], v[0:1], v[20:21]
	v_mul_f64 v[0:1], v[24:25], v[0:1]
	v_add_f64 v[140:141], v[126:127], -v[132:133]
	s_delay_alu instid0(VALU_DEP_2) | instskip(SKIP_4) | instid1(VALU_DEP_1)
	v_fma_f64 v[134:135], v[22:23], v[2:3], -v[0:1]
	scratch_load_b128 v[22:25], off, off offset:384 ; 16-byte Folded Reload
	ds_load_b128 v[0:3], v252 offset:7888
	s_waitcnt vmcnt(0) lgkmcnt(0)
	v_mul_f64 v[20:21], v[24:25], v[2:3]
	v_fma_f64 v[136:137], v[22:23], v[0:1], v[20:21]
	v_mul_f64 v[0:1], v[24:25], v[0:1]
	s_delay_alu instid0(VALU_DEP_2) | instskip(NEXT) | instid1(VALU_DEP_2)
	v_add_f64 v[142:143], v[124:125], -v[136:137]
	v_fma_f64 v[138:139], v[22:23], v[2:3], -v[0:1]
	scratch_load_b128 v[22:25], off, off offset:416 ; 16-byte Folded Reload
	ds_load_b128 v[0:3], v252 offset:2448
	s_waitcnt vmcnt(0) lgkmcnt(0)
	v_mul_f64 v[20:21], v[24:25], v[2:3]
	s_delay_alu instid0(VALU_DEP_1) | instskip(SKIP_1) | instid1(VALU_DEP_1)
	v_fma_f64 v[36:37], v[22:23], v[0:1], v[20:21]
	v_mul_f64 v[0:1], v[24:25], v[0:1]
	v_fma_f64 v[38:39], v[22:23], v[2:3], -v[0:1]
	scratch_load_b128 v[22:25], off, off offset:400 ; 16-byte Folded Reload
	ds_load_b128 v[0:3], v252 offset:4352
	s_waitcnt vmcnt(0) lgkmcnt(0)
	v_mul_f64 v[20:21], v[24:25], v[2:3]
	s_delay_alu instid0(VALU_DEP_1) | instskip(SKIP_1) | instid1(VALU_DEP_1)
	v_fma_f64 v[40:41], v[22:23], v[0:1], v[20:21]
	v_mul_f64 v[0:1], v[24:25], v[0:1]
	;; [unrolled: 8-line block ×19, first 2 shown]
	v_fma_f64 v[110:111], v[22:23], v[2:3], -v[0:1]
	scratch_load_b128 v[22:25], off, off offset:1280 ; 16-byte Folded Reload
	ds_load_b128 v[0:3], v252 offset:9248
	s_waitcnt vmcnt(0) lgkmcnt(0)
	v_mul_f64 v[20:21], v[24:25], v[2:3]
	s_delay_alu instid0(VALU_DEP_1) | instskip(SKIP_2) | instid1(VALU_DEP_2)
	v_fma_f64 v[112:113], v[22:23], v[0:1], v[20:21]
	v_mul_f64 v[0:1], v[24:25], v[0:1]
	v_add_f64 v[24:25], v[8:9], v[12:13]
	v_fma_f64 v[114:115], v[22:23], v[2:3], -v[0:1]
	v_add_f64 v[0:1], v[4:5], -v[8:9]
	v_add_f64 v[2:3], v[16:17], -v[12:13]
	s_delay_alu instid0(VALU_DEP_1) | instskip(SKIP_2) | instid1(VALU_DEP_1)
	v_add_f64 v[20:21], v[0:1], v[2:3]
	v_add_f64 v[0:1], v[6:7], -v[10:11]
	v_add_f64 v[2:3], v[18:19], -v[14:15]
	v_add_f64 v[22:23], v[0:1], v[2:3]
	ds_load_b128 v[0:3], v252
	s_waitcnt lgkmcnt(0)
	v_fma_f64 v[28:29], v[24:25], -0.5, v[0:1]
	v_add_f64 v[24:25], v[10:11], v[14:15]
	s_delay_alu instid0(VALU_DEP_1) | instskip(NEXT) | instid1(VALU_DEP_3)
	v_fma_f64 v[30:31], v[24:25], -0.5, v[2:3]
	v_fma_f64 v[24:25], v[32:33], s[10:11], v[28:29]
	v_fma_f64 v[28:29], v[32:33], s[14:15], v[28:29]
	s_delay_alu instid0(VALU_DEP_3) | instskip(SKIP_1) | instid1(VALU_DEP_4)
	v_fma_f64 v[26:27], v[116:117], s[14:15], v[30:31]
	v_fma_f64 v[30:31], v[116:117], s[10:11], v[30:31]
	;; [unrolled: 1-line block ×3, first 2 shown]
	s_delay_alu instid0(VALU_DEP_4) | instskip(NEXT) | instid1(VALU_DEP_4)
	v_fma_f64 v[28:29], v[34:35], s[8:9], v[28:29]
	v_fma_f64 v[26:27], v[118:119], s[8:9], v[26:27]
	s_delay_alu instid0(VALU_DEP_4) | instskip(NEXT) | instid1(VALU_DEP_4)
	v_fma_f64 v[30:31], v[118:119], s[0:1], v[30:31]
	v_fma_f64 v[24:25], v[20:21], s[12:13], v[24:25]
	s_delay_alu instid0(VALU_DEP_4) | instskip(SKIP_4) | instid1(VALU_DEP_4)
	v_fma_f64 v[20:21], v[20:21], s[12:13], v[28:29]
	v_add_f64 v[28:29], v[4:5], v[16:17]
	v_fma_f64 v[26:27], v[22:23], s[12:13], v[26:27]
	v_fma_f64 v[22:23], v[22:23], s[12:13], v[30:31]
	v_add_f64 v[30:31], v[6:7], v[18:19]
	v_fma_f64 v[28:29], v[28:29], -0.5, v[0:1]
	v_add_f64 v[0:1], v[0:1], v[4:5]
	v_add_f64 v[4:5], v[8:9], -v[4:5]
	s_delay_alu instid0(VALU_DEP_4) | instskip(SKIP_4) | instid1(VALU_DEP_4)
	v_fma_f64 v[30:31], v[30:31], -0.5, v[2:3]
	v_add_f64 v[2:3], v[2:3], v[6:7]
	v_add_f64 v[6:7], v[10:11], -v[6:7]
	v_add_f64 v[0:1], v[0:1], v[8:9]
	v_add_f64 v[8:9], v[12:13], -v[16:17]
	;; [unrolled: 2-line block ×3, first 2 shown]
	s_delay_alu instid0(VALU_DEP_4)
	v_add_f64 v[0:1], v[0:1], v[12:13]
	v_fma_f64 v[12:13], v[34:35], s[14:15], v[28:29]
	v_add_f64 v[4:5], v[4:5], v[8:9]
	v_add_f64 v[2:3], v[2:3], v[14:15]
	v_fma_f64 v[14:15], v[34:35], s[10:11], v[28:29]
	v_add_f64 v[0:1], v[0:1], v[16:17]
	v_fma_f64 v[16:17], v[118:119], s[10:11], v[30:31]
	;; [unrolled: 2-line block ×4, first 2 shown]
	v_fma_f64 v[10:11], v[32:33], s[8:9], v[14:15]
	v_fma_f64 v[12:13], v[116:117], s[8:9], v[16:17]
	v_add_f64 v[16:17], v[130:131], -v[134:135]
	v_fma_f64 v[32:33], v[4:5], s[12:13], v[8:9]
	ds_store_b128 v252, v[0:3]
	v_fma_f64 v[14:15], v[116:117], s[0:1], v[18:19]
	v_fma_f64 v[28:29], v[4:5], s[12:13], v[10:11]
	;; [unrolled: 1-line block ×3, first 2 shown]
	v_add_f64 v[4:5], v[126:127], -v[124:125]
	v_add_f64 v[12:13], v[124:125], v[136:137]
	v_add_f64 v[18:19], v[128:129], -v[138:139]
	v_fma_f64 v[30:31], v[6:7], s[12:13], v[14:15]
	v_add_f64 v[6:7], v[132:133], -v[136:137]
	v_add_f64 v[14:15], v[128:129], v[138:139]
	s_delay_alu instid0(VALU_DEP_2) | instskip(SKIP_2) | instid1(VALU_DEP_1)
	v_add_f64 v[8:9], v[4:5], v[6:7]
	v_add_f64 v[4:5], v[130:131], -v[128:129]
	v_add_f64 v[6:7], v[134:135], -v[138:139]
	v_add_f64 v[10:11], v[4:5], v[6:7]
	ds_load_b128 v[4:7], v252 offset:272
	s_waitcnt lgkmcnt(0)
	v_fma_f64 v[12:13], v[12:13], -0.5, v[4:5]
	v_fma_f64 v[14:15], v[14:15], -0.5, v[6:7]
	s_delay_alu instid0(VALU_DEP_2) | instskip(NEXT) | instid1(VALU_DEP_2)
	v_fma_f64 v[116:117], v[16:17], s[14:15], v[12:13]
	v_fma_f64 v[118:119], v[140:141], s[10:11], v[14:15]
	;; [unrolled: 1-line block ×4, first 2 shown]
	s_delay_alu instid0(VALU_DEP_4) | instskip(NEXT) | instid1(VALU_DEP_4)
	v_fma_f64 v[116:117], v[18:19], s[0:1], v[116:117]
	v_fma_f64 v[118:119], v[142:143], s[8:9], v[118:119]
	s_delay_alu instid0(VALU_DEP_4) | instskip(NEXT) | instid1(VALU_DEP_4)
	v_fma_f64 v[12:13], v[18:19], s[8:9], v[12:13]
	v_fma_f64 v[14:15], v[142:143], s[0:1], v[14:15]
	;; [unrolled: 3-line block ×4, first 2 shown]
	v_add_f64 v[8:9], v[126:127], v[132:133]
	v_add_f64 v[10:11], v[130:131], v[134:135]
	v_add_f64 v[12:13], v[124:125], -v[126:127]
	s_delay_alu instid0(VALU_DEP_3) | instskip(NEXT) | instid1(VALU_DEP_3)
	v_fma_f64 v[8:9], v[8:9], -0.5, v[4:5]
	v_fma_f64 v[10:11], v[10:11], -0.5, v[6:7]
	v_add_f64 v[4:5], v[4:5], v[124:125]
	v_add_f64 v[6:7], v[6:7], v[128:129]
	s_delay_alu instid0(VALU_DEP_4) | instskip(SKIP_1) | instid1(VALU_DEP_4)
	v_fma_f64 v[14:15], v[18:19], s[10:11], v[8:9]
	v_fma_f64 v[8:9], v[18:19], s[14:15], v[8:9]
	v_add_f64 v[4:5], v[4:5], v[126:127]
	s_delay_alu instid0(VALU_DEP_4)
	v_add_f64 v[6:7], v[6:7], v[130:131]
	v_add_f64 v[18:19], v[136:137], -v[132:133]
	v_fma_f64 v[14:15], v[16:17], s[0:1], v[14:15]
	v_fma_f64 v[8:9], v[16:17], s[8:9], v[8:9]
	v_add_f64 v[4:5], v[4:5], v[132:133]
	v_add_f64 v[6:7], v[6:7], v[134:135]
	;; [unrolled: 1-line block ×3, first 2 shown]
	s_delay_alu instid0(VALU_DEP_3) | instskip(NEXT) | instid1(VALU_DEP_3)
	v_add_f64 v[124:125], v[4:5], v[136:137]
	v_add_f64 v[126:127], v[6:7], v[138:139]
	v_add_f64 v[4:5], v[128:129], -v[130:131]
	v_add_f64 v[6:7], v[138:139], -v[134:135]
	v_fma_f64 v[128:129], v[142:143], s[14:15], v[10:11]
	v_fma_f64 v[10:11], v[142:143], s[10:11], v[10:11]
	;; [unrolled: 1-line block ×3, first 2 shown]
	s_delay_alu instid0(VALU_DEP_4) | instskip(NEXT) | instid1(VALU_DEP_4)
	v_add_f64 v[4:5], v[4:5], v[6:7]
	v_fma_f64 v[6:7], v[140:141], s[8:9], v[128:129]
	s_delay_alu instid0(VALU_DEP_4) | instskip(SKIP_1) | instid1(VALU_DEP_3)
	v_fma_f64 v[10:11], v[140:141], s[0:1], v[10:11]
	v_fma_f64 v[128:129], v[12:13], s[12:13], v[14:15]
	v_fma_f64 v[130:131], v[4:5], s[12:13], v[6:7]
	s_delay_alu instid0(VALU_DEP_3)
	v_fma_f64 v[134:135], v[4:5], s[12:13], v[10:11]
	ds_load_b128 v[0:3], v252 offset:1632
	ds_load_b128 v[16:19], v252 offset:544
	;; [unrolled: 1-line block ×5, first 2 shown]
	scratch_load_b32 v136, off, off offset:1296 ; 4-byte Folded Reload
	s_waitcnt vmcnt(0)
	ds_store_b128 v136, v[24:27] offset:1904
	ds_store_b128 v136, v[32:35] offset:3808
	ds_store_b128 v136, v[28:31] offset:5712
	ds_store_b128 v136, v[20:23] offset:7616
	ds_store_b128 v252, v[124:127] offset:272
	ds_store_b128 v136, v[128:131] offset:2176
	ds_store_b128 v136, v[116:119] offset:4080
	ds_store_b128 v136, v[120:123] offset:5984
	ds_store_b128 v136, v[132:135] offset:7888
	v_add_f64 v[20:21], v[52:53], -v[58:59]
	v_add_f64 v[22:23], v[56:57], -v[64:65]
	v_add_f64 v[32:33], v[54:55], -v[60:61]
	v_add_f64 v[116:117], v[52:53], -v[56:57]
	v_add_f64 v[34:35], v[62:63], -v[66:67]
	v_add_f64 v[118:119], v[58:59], -v[64:65]
	v_add_f64 v[124:125], v[66:67], -v[60:61]
	v_add_f64 v[24:25], v[20:21], v[22:23]
	v_add_f64 v[20:21], v[54:55], -v[62:63]
	v_add_f64 v[22:23], v[60:61], -v[66:67]
	s_delay_alu instid0(VALU_DEP_1) | instskip(SKIP_2) | instid1(VALU_DEP_1)
	v_add_f64 v[26:27], v[20:21], v[22:23]
	v_add_f64 v[20:21], v[58:59], v[64:65]
	s_waitcnt lgkmcnt(11)
	v_fma_f64 v[28:29], v[20:21], -0.5, v[12:13]
	v_add_f64 v[20:21], v[62:63], v[66:67]
	s_delay_alu instid0(VALU_DEP_1) | instskip(NEXT) | instid1(VALU_DEP_3)
	v_fma_f64 v[30:31], v[20:21], -0.5, v[14:15]
	v_fma_f64 v[20:21], v[32:33], s[14:15], v[28:29]
	v_fma_f64 v[28:29], v[32:33], s[10:11], v[28:29]
	s_delay_alu instid0(VALU_DEP_3) | instskip(SKIP_1) | instid1(VALU_DEP_4)
	v_fma_f64 v[22:23], v[116:117], s[10:11], v[30:31]
	v_fma_f64 v[30:31], v[116:117], s[14:15], v[30:31]
	;; [unrolled: 1-line block ×3, first 2 shown]
	s_delay_alu instid0(VALU_DEP_4) | instskip(NEXT) | instid1(VALU_DEP_4)
	v_fma_f64 v[28:29], v[34:35], s[8:9], v[28:29]
	v_fma_f64 v[22:23], v[118:119], s[8:9], v[22:23]
	s_delay_alu instid0(VALU_DEP_4) | instskip(NEXT) | instid1(VALU_DEP_4)
	v_fma_f64 v[30:31], v[118:119], s[0:1], v[30:31]
	v_fma_f64 v[20:21], v[24:25], s[12:13], v[20:21]
	s_delay_alu instid0(VALU_DEP_4) | instskip(SKIP_4) | instid1(VALU_DEP_1)
	v_fma_f64 v[24:25], v[24:25], s[12:13], v[28:29]
	v_add_f64 v[28:29], v[58:59], -v[52:53]
	v_fma_f64 v[22:23], v[26:27], s[12:13], v[22:23]
	v_fma_f64 v[26:27], v[26:27], s[12:13], v[30:31]
	v_add_f64 v[30:31], v[64:65], -v[56:57]
	v_add_f64 v[120:121], v[28:29], v[30:31]
	v_add_f64 v[28:29], v[52:53], v[56:57]
	s_delay_alu instid0(VALU_DEP_1) | instskip(NEXT) | instid1(VALU_DEP_1)
	v_fma_f64 v[28:29], v[28:29], -0.5, v[12:13]
	v_fma_f64 v[30:31], v[34:35], s[10:11], v[28:29]
	v_fma_f64 v[28:29], v[34:35], s[14:15], v[28:29]
	v_add_f64 v[34:35], v[54:55], v[60:61]
	s_delay_alu instid0(VALU_DEP_3) | instskip(NEXT) | instid1(VALU_DEP_3)
	v_fma_f64 v[30:31], v[32:33], s[0:1], v[30:31]
	v_fma_f64 v[32:33], v[32:33], s[8:9], v[28:29]
	s_delay_alu instid0(VALU_DEP_3) | instskip(NEXT) | instid1(VALU_DEP_3)
	v_fma_f64 v[34:35], v[34:35], -0.5, v[14:15]
	v_fma_f64 v[28:29], v[120:121], s[12:13], v[30:31]
	s_delay_alu instid0(VALU_DEP_3) | instskip(NEXT) | instid1(VALU_DEP_3)
	v_fma_f64 v[32:33], v[120:121], s[12:13], v[32:33]
	v_fma_f64 v[122:123], v[118:119], s[14:15], v[34:35]
	;; [unrolled: 1-line block ×3, first 2 shown]
	v_add_f64 v[118:119], v[62:63], -v[54:55]
	s_delay_alu instid0(VALU_DEP_3) | instskip(NEXT) | instid1(VALU_DEP_3)
	v_fma_f64 v[122:123], v[116:117], s[8:9], v[122:123]
	v_fma_f64 v[34:35], v[116:117], s[0:1], v[34:35]
	s_delay_alu instid0(VALU_DEP_3) | instskip(SKIP_2) | instid1(VALU_DEP_3)
	v_add_f64 v[118:119], v[118:119], v[124:125]
	v_add_f64 v[116:117], v[68:69], -v[72:73]
	v_add_f64 v[124:125], v[82:83], -v[76:77]
	v_fma_f64 v[30:31], v[118:119], s[12:13], v[122:123]
	v_fma_f64 v[34:35], v[118:119], s[12:13], v[34:35]
	ds_store_b128 v231, v[28:31] offset:1904
	ds_store_b128 v231, v[20:23] offset:3808
	;; [unrolled: 1-line block ×4, first 2 shown]
	v_add_f64 v[20:21], v[68:69], -v[74:75]
	v_add_f64 v[22:23], v[72:73], -v[80:81]
	;; [unrolled: 1-line block ×5, first 2 shown]
	s_delay_alu instid0(VALU_DEP_4) | instskip(SKIP_2) | instid1(VALU_DEP_1)
	v_add_f64 v[24:25], v[20:21], v[22:23]
	v_add_f64 v[20:21], v[70:71], -v[78:79]
	v_add_f64 v[22:23], v[76:77], -v[82:83]
	v_add_f64 v[26:27], v[20:21], v[22:23]
	v_add_f64 v[20:21], v[74:75], v[80:81]
	s_waitcnt lgkmcnt(14)
	s_delay_alu instid0(VALU_DEP_1) | instskip(SKIP_1) | instid1(VALU_DEP_1)
	v_fma_f64 v[28:29], v[20:21], -0.5, v[8:9]
	v_add_f64 v[20:21], v[78:79], v[82:83]
	v_fma_f64 v[30:31], v[20:21], -0.5, v[10:11]
	s_delay_alu instid0(VALU_DEP_3) | instskip(SKIP_1) | instid1(VALU_DEP_3)
	v_fma_f64 v[20:21], v[32:33], s[14:15], v[28:29]
	v_fma_f64 v[28:29], v[32:33], s[10:11], v[28:29]
	;; [unrolled: 1-line block ×4, first 2 shown]
	s_delay_alu instid0(VALU_DEP_4) | instskip(NEXT) | instid1(VALU_DEP_4)
	v_fma_f64 v[20:21], v[34:35], s[0:1], v[20:21]
	v_fma_f64 v[28:29], v[34:35], s[8:9], v[28:29]
	s_delay_alu instid0(VALU_DEP_4) | instskip(NEXT) | instid1(VALU_DEP_4)
	v_fma_f64 v[22:23], v[118:119], s[8:9], v[22:23]
	v_fma_f64 v[30:31], v[118:119], s[0:1], v[30:31]
	;; [unrolled: 3-line block ×3, first 2 shown]
	v_add_f64 v[28:29], v[74:75], -v[68:69]
	v_fma_f64 v[22:23], v[26:27], s[12:13], v[22:23]
	v_fma_f64 v[26:27], v[26:27], s[12:13], v[30:31]
	v_add_f64 v[30:31], v[80:81], -v[72:73]
	s_delay_alu instid0(VALU_DEP_1) | instskip(SKIP_1) | instid1(VALU_DEP_1)
	v_add_f64 v[120:121], v[28:29], v[30:31]
	v_add_f64 v[28:29], v[68:69], v[72:73]
	v_fma_f64 v[28:29], v[28:29], -0.5, v[8:9]
	s_delay_alu instid0(VALU_DEP_1) | instskip(SKIP_2) | instid1(VALU_DEP_3)
	v_fma_f64 v[30:31], v[34:35], s[10:11], v[28:29]
	v_fma_f64 v[28:29], v[34:35], s[14:15], v[28:29]
	v_add_f64 v[34:35], v[70:71], v[76:77]
	v_fma_f64 v[30:31], v[32:33], s[0:1], v[30:31]
	s_delay_alu instid0(VALU_DEP_3) | instskip(NEXT) | instid1(VALU_DEP_3)
	v_fma_f64 v[32:33], v[32:33], s[8:9], v[28:29]
	v_fma_f64 v[34:35], v[34:35], -0.5, v[10:11]
	s_delay_alu instid0(VALU_DEP_3) | instskip(NEXT) | instid1(VALU_DEP_3)
	v_fma_f64 v[28:29], v[120:121], s[12:13], v[30:31]
	v_fma_f64 v[32:33], v[120:121], s[12:13], v[32:33]
	s_delay_alu instid0(VALU_DEP_3) | instskip(SKIP_2) | instid1(VALU_DEP_3)
	v_fma_f64 v[122:123], v[118:119], s[14:15], v[34:35]
	v_fma_f64 v[34:35], v[118:119], s[10:11], v[34:35]
	v_add_f64 v[118:119], v[78:79], -v[70:71]
	v_fma_f64 v[122:123], v[116:117], s[8:9], v[122:123]
	s_delay_alu instid0(VALU_DEP_3) | instskip(NEXT) | instid1(VALU_DEP_3)
	v_fma_f64 v[34:35], v[116:117], s[0:1], v[34:35]
	v_add_f64 v[118:119], v[118:119], v[124:125]
	v_add_f64 v[116:117], v[40:41], -v[44:45]
	v_add_f64 v[124:125], v[50:51], -v[46:47]
	s_delay_alu instid0(VALU_DEP_3)
	v_fma_f64 v[30:31], v[118:119], s[12:13], v[122:123]
	v_fma_f64 v[34:35], v[118:119], s[12:13], v[34:35]
	ds_store_b128 v230, v[28:31] offset:1904
	ds_store_b128 v230, v[20:23] offset:3808
	;; [unrolled: 1-line block ×4, first 2 shown]
	v_add_f64 v[20:21], v[40:41], -v[36:37]
	v_add_f64 v[22:23], v[44:45], -v[48:49]
	;; [unrolled: 1-line block ×5, first 2 shown]
	s_delay_alu instid0(VALU_DEP_4) | instskip(SKIP_2) | instid1(VALU_DEP_1)
	v_add_f64 v[24:25], v[20:21], v[22:23]
	v_add_f64 v[20:21], v[42:43], -v[38:39]
	v_add_f64 v[22:23], v[46:47], -v[50:51]
	v_add_f64 v[26:27], v[20:21], v[22:23]
	v_add_f64 v[20:21], v[36:37], v[48:49]
	s_delay_alu instid0(VALU_DEP_1) | instskip(SKIP_1) | instid1(VALU_DEP_1)
	v_fma_f64 v[28:29], v[20:21], -0.5, v[16:17]
	v_add_f64 v[20:21], v[38:39], v[50:51]
	v_fma_f64 v[30:31], v[20:21], -0.5, v[18:19]
	s_delay_alu instid0(VALU_DEP_3) | instskip(SKIP_1) | instid1(VALU_DEP_3)
	v_fma_f64 v[20:21], v[32:33], s[14:15], v[28:29]
	v_fma_f64 v[28:29], v[32:33], s[10:11], v[28:29]
	v_fma_f64 v[22:23], v[116:117], s[10:11], v[30:31]
	v_fma_f64 v[30:31], v[116:117], s[14:15], v[30:31]
	s_delay_alu instid0(VALU_DEP_4) | instskip(NEXT) | instid1(VALU_DEP_4)
	v_fma_f64 v[20:21], v[34:35], s[0:1], v[20:21]
	v_fma_f64 v[28:29], v[34:35], s[8:9], v[28:29]
	s_delay_alu instid0(VALU_DEP_4) | instskip(NEXT) | instid1(VALU_DEP_4)
	v_fma_f64 v[22:23], v[118:119], s[8:9], v[22:23]
	v_fma_f64 v[30:31], v[118:119], s[0:1], v[30:31]
	;; [unrolled: 3-line block ×3, first 2 shown]
	v_add_f64 v[28:29], v[36:37], -v[40:41]
	v_fma_f64 v[22:23], v[26:27], s[12:13], v[22:23]
	v_fma_f64 v[26:27], v[26:27], s[12:13], v[30:31]
	v_add_f64 v[30:31], v[48:49], -v[44:45]
	s_delay_alu instid0(VALU_DEP_1) | instskip(SKIP_1) | instid1(VALU_DEP_1)
	v_add_f64 v[120:121], v[28:29], v[30:31]
	v_add_f64 v[28:29], v[40:41], v[44:45]
	v_fma_f64 v[28:29], v[28:29], -0.5, v[16:17]
	v_add_f64 v[16:17], v[16:17], v[36:37]
	s_delay_alu instid0(VALU_DEP_2) | instskip(SKIP_2) | instid1(VALU_DEP_2)
	v_fma_f64 v[30:31], v[34:35], s[10:11], v[28:29]
	v_fma_f64 v[28:29], v[34:35], s[14:15], v[28:29]
	v_add_f64 v[34:35], v[42:43], v[46:47]
	v_fma_f64 v[28:29], v[32:33], s[8:9], v[28:29]
	s_delay_alu instid0(VALU_DEP_2) | instskip(SKIP_1) | instid1(VALU_DEP_3)
	v_fma_f64 v[34:35], v[34:35], -0.5, v[18:19]
	v_add_f64 v[18:19], v[18:19], v[38:39]
	v_fma_f64 v[28:29], v[120:121], s[12:13], v[28:29]
	s_delay_alu instid0(VALU_DEP_3) | instskip(SKIP_2) | instid1(VALU_DEP_1)
	v_fma_f64 v[122:123], v[118:119], s[14:15], v[34:35]
	v_fma_f64 v[34:35], v[118:119], s[10:11], v[34:35]
	v_add_f64 v[118:119], v[38:39], -v[42:43]
	v_add_f64 v[118:119], v[118:119], v[124:125]
	v_fma_f64 v[124:125], v[32:33], s[0:1], v[30:31]
	s_delay_alu instid0(VALU_DEP_4) | instskip(SKIP_2) | instid1(VALU_DEP_4)
	v_fma_f64 v[30:31], v[116:117], s[0:1], v[34:35]
	v_fma_f64 v[34:35], v[116:117], s[8:9], v[122:123]
	v_add_nc_u32_e32 v116, 0x220, v252
	v_fma_f64 v[32:33], v[120:121], s[12:13], v[124:125]
	s_delay_alu instid0(VALU_DEP_4) | instskip(NEXT) | instid1(VALU_DEP_4)
	v_fma_f64 v[30:31], v[118:119], s[12:13], v[30:31]
	v_fma_f64 v[34:35], v[118:119], s[12:13], v[34:35]
	ds_store_b128 v116, v[20:23] offset:3808
	ds_store_b128 v116, v[24:27] offset:5712
	;; [unrolled: 1-line block ×4, first 2 shown]
	v_add_f64 v[20:21], v[84:85], -v[90:91]
	v_add_f64 v[22:23], v[88:89], -v[96:97]
	;; [unrolled: 1-line block ×7, first 2 shown]
	v_add_f64 v[24:25], v[20:21], v[22:23]
	v_add_f64 v[20:21], v[86:87], -v[94:95]
	v_add_f64 v[22:23], v[92:93], -v[98:99]
	s_delay_alu instid0(VALU_DEP_1) | instskip(SKIP_2) | instid1(VALU_DEP_1)
	v_add_f64 v[26:27], v[20:21], v[22:23]
	v_add_f64 v[20:21], v[90:91], v[96:97]
	s_waitcnt lgkmcnt(21)
	v_fma_f64 v[28:29], v[20:21], -0.5, v[4:5]
	v_add_f64 v[20:21], v[94:95], v[98:99]
	s_delay_alu instid0(VALU_DEP_1) | instskip(NEXT) | instid1(VALU_DEP_3)
	v_fma_f64 v[30:31], v[20:21], -0.5, v[6:7]
	v_fma_f64 v[20:21], v[32:33], s[14:15], v[28:29]
	v_fma_f64 v[28:29], v[32:33], s[10:11], v[28:29]
	s_delay_alu instid0(VALU_DEP_3) | instskip(SKIP_1) | instid1(VALU_DEP_4)
	v_fma_f64 v[22:23], v[116:117], s[10:11], v[30:31]
	v_fma_f64 v[30:31], v[116:117], s[14:15], v[30:31]
	;; [unrolled: 1-line block ×3, first 2 shown]
	s_delay_alu instid0(VALU_DEP_4) | instskip(NEXT) | instid1(VALU_DEP_4)
	v_fma_f64 v[28:29], v[34:35], s[8:9], v[28:29]
	v_fma_f64 v[22:23], v[118:119], s[8:9], v[22:23]
	s_delay_alu instid0(VALU_DEP_4) | instskip(NEXT) | instid1(VALU_DEP_4)
	v_fma_f64 v[30:31], v[118:119], s[0:1], v[30:31]
	v_fma_f64 v[20:21], v[24:25], s[12:13], v[20:21]
	s_delay_alu instid0(VALU_DEP_4) | instskip(SKIP_4) | instid1(VALU_DEP_1)
	v_fma_f64 v[24:25], v[24:25], s[12:13], v[28:29]
	v_add_f64 v[28:29], v[90:91], -v[84:85]
	v_fma_f64 v[22:23], v[26:27], s[12:13], v[22:23]
	v_fma_f64 v[26:27], v[26:27], s[12:13], v[30:31]
	v_add_f64 v[30:31], v[96:97], -v[88:89]
	v_add_f64 v[120:121], v[28:29], v[30:31]
	v_add_f64 v[28:29], v[84:85], v[88:89]
	s_delay_alu instid0(VALU_DEP_1) | instskip(NEXT) | instid1(VALU_DEP_1)
	v_fma_f64 v[28:29], v[28:29], -0.5, v[4:5]
	v_fma_f64 v[30:31], v[34:35], s[10:11], v[28:29]
	v_fma_f64 v[28:29], v[34:35], s[14:15], v[28:29]
	v_add_f64 v[34:35], v[86:87], v[92:93]
	s_delay_alu instid0(VALU_DEP_3) | instskip(NEXT) | instid1(VALU_DEP_3)
	v_fma_f64 v[30:31], v[32:33], s[0:1], v[30:31]
	v_fma_f64 v[32:33], v[32:33], s[8:9], v[28:29]
	s_delay_alu instid0(VALU_DEP_3) | instskip(NEXT) | instid1(VALU_DEP_3)
	v_fma_f64 v[34:35], v[34:35], -0.5, v[6:7]
	v_fma_f64 v[28:29], v[120:121], s[12:13], v[30:31]
	s_delay_alu instid0(VALU_DEP_3) | instskip(NEXT) | instid1(VALU_DEP_3)
	v_fma_f64 v[32:33], v[120:121], s[12:13], v[32:33]
	v_fma_f64 v[122:123], v[118:119], s[14:15], v[34:35]
	;; [unrolled: 1-line block ×3, first 2 shown]
	v_add_f64 v[118:119], v[94:95], -v[86:87]
	s_delay_alu instid0(VALU_DEP_3) | instskip(NEXT) | instid1(VALU_DEP_3)
	v_fma_f64 v[122:123], v[116:117], s[8:9], v[122:123]
	v_fma_f64 v[34:35], v[116:117], s[0:1], v[34:35]
	s_delay_alu instid0(VALU_DEP_3) | instskip(SKIP_1) | instid1(VALU_DEP_2)
	v_add_f64 v[118:119], v[118:119], v[124:125]
	v_add_nc_u32_e32 v116, 0x550, v252
	v_fma_f64 v[30:31], v[118:119], s[12:13], v[122:123]
	s_delay_alu instid0(VALU_DEP_4)
	v_fma_f64 v[34:35], v[118:119], s[12:13], v[34:35]
	ds_store_b128 v116, v[28:31] offset:1904
	ds_store_b128 v116, v[20:23] offset:3808
	;; [unrolled: 1-line block ×4, first 2 shown]
	v_add_f64 v[20:21], v[100:101], -v[104:105]
	v_add_f64 v[22:23], v[106:107], -v[112:113]
	;; [unrolled: 1-line block ×7, first 2 shown]
	v_add_f64 v[24:25], v[20:21], v[22:23]
	v_add_f64 v[20:21], v[102:103], -v[108:109]
	v_add_f64 v[22:23], v[110:111], -v[114:115]
	s_delay_alu instid0(VALU_DEP_1) | instskip(SKIP_2) | instid1(VALU_DEP_2)
	v_add_f64 v[26:27], v[20:21], v[22:23]
	v_add_f64 v[20:21], v[104:105], v[112:113]
	;; [unrolled: 1-line block ×3, first 2 shown]
	v_fma_f64 v[28:29], v[20:21], -0.5, v[0:1]
	s_delay_alu instid0(VALU_DEP_2) | instskip(NEXT) | instid1(VALU_DEP_2)
	v_fma_f64 v[34:35], v[22:23], -0.5, v[2:3]
	v_fma_f64 v[20:21], v[30:31], s[14:15], v[28:29]
	v_fma_f64 v[28:29], v[30:31], s[10:11], v[28:29]
	s_delay_alu instid0(VALU_DEP_3) | instskip(SKIP_1) | instid1(VALU_DEP_4)
	v_fma_f64 v[22:23], v[116:117], s[10:11], v[34:35]
	v_fma_f64 v[34:35], v[116:117], s[14:15], v[34:35]
	;; [unrolled: 1-line block ×3, first 2 shown]
	s_delay_alu instid0(VALU_DEP_4) | instskip(NEXT) | instid1(VALU_DEP_4)
	v_fma_f64 v[28:29], v[32:33], s[8:9], v[28:29]
	v_fma_f64 v[22:23], v[118:119], s[8:9], v[22:23]
	s_delay_alu instid0(VALU_DEP_4) | instskip(NEXT) | instid1(VALU_DEP_4)
	v_fma_f64 v[34:35], v[118:119], s[0:1], v[34:35]
	v_fma_f64 v[20:21], v[24:25], s[12:13], v[20:21]
	s_delay_alu instid0(VALU_DEP_4) | instskip(SKIP_3) | instid1(VALU_DEP_3)
	v_fma_f64 v[24:25], v[24:25], s[12:13], v[28:29]
	v_add_f64 v[28:29], v[100:101], v[106:107]
	v_fma_f64 v[22:23], v[26:27], s[12:13], v[22:23]
	v_fma_f64 v[26:27], v[26:27], s[12:13], v[34:35]
	v_fma_f64 v[28:29], v[28:29], -0.5, v[0:1]
	s_delay_alu instid0(VALU_DEP_1) | instskip(SKIP_2) | instid1(VALU_DEP_3)
	v_fma_f64 v[34:35], v[32:33], s[10:11], v[28:29]
	v_fma_f64 v[28:29], v[32:33], s[14:15], v[28:29]
	v_add_f64 v[32:33], v[102:103], v[110:111]
	v_fma_f64 v[34:35], v[30:31], s[0:1], v[34:35]
	s_delay_alu instid0(VALU_DEP_2) | instskip(NEXT) | instid1(VALU_DEP_1)
	v_fma_f64 v[32:33], v[32:33], -0.5, v[2:3]
	v_fma_f64 v[120:121], v[118:119], s[14:15], v[32:33]
	v_fma_f64 v[32:33], v[118:119], s[10:11], v[32:33]
	v_add_f64 v[118:119], v[104:105], -v[100:101]
	s_delay_alu instid0(VALU_DEP_1) | instskip(SKIP_3) | instid1(VALU_DEP_1)
	v_add_f64 v[118:119], v[118:119], v[122:123]
	v_fma_f64 v[122:123], v[30:31], s[8:9], v[28:29]
	v_add_f64 v[28:29], v[108:109], -v[102:103]
	v_add_f64 v[30:31], v[114:115], -v[110:111]
	v_add_f64 v[124:125], v[28:29], v[30:31]
	v_fma_f64 v[30:31], v[116:117], s[8:9], v[120:121]
	v_fma_f64 v[116:117], v[116:117], s[0:1], v[32:33]
	;; [unrolled: 1-line block ×4, first 2 shown]
	s_mov_b32 s0, 0x1b89401c
	s_mov_b32 s1, 0x3f5b8940
	s_delay_alu instid0(VALU_DEP_4) | instskip(NEXT) | instid1(VALU_DEP_4)
	v_fma_f64 v[30:31], v[124:125], s[12:13], v[30:31]
	v_fma_f64 v[34:35], v[124:125], s[12:13], v[116:117]
	ds_store_b128 v144, v[28:31] offset:1904
	ds_store_b128 v144, v[20:23] offset:3808
	;; [unrolled: 1-line block ×4, first 2 shown]
	v_add_f64 v[20:21], v[12:13], v[58:59]
	v_add_f64 v[22:23], v[14:15], v[62:63]
	;; [unrolled: 1-line block ×36, first 2 shown]
	s_delay_alu instid0(VALU_DEP_4) | instskip(NEXT) | instid1(VALU_DEP_4)
	v_add_f64 v[16:17], v[16:17], v[112:113]
	v_add_f64 v[18:19], v[18:19], v[114:115]
	ds_store_b128 v252, v[12:15] offset:544
	ds_store_b128 v252, v[8:11] offset:816
	;; [unrolled: 1-line block ×5, first 2 shown]
	s_waitcnt lgkmcnt(0)
	s_barrier
	buffer_gl0_inv
	s_clause 0x5
	scratch_load_b128 v[6:9], off, off offset:620
	scratch_load_b128 v[10:13], off, off offset:604
	;; [unrolled: 1-line block ×6, first 2 shown]
	ds_load_b128 v[0:3], v252
	s_clause 0x12
	scratch_load_b128 v[26:29], off, off offset:508
	scratch_load_b128 v[30:33], off, off offset:524
	;; [unrolled: 1-line block ×19, first 2 shown]
	s_waitcnt vmcnt(24) lgkmcnt(0)
	v_mul_f64 v[4:5], v[8:9], v[2:3]
	s_delay_alu instid0(VALU_DEP_1) | instskip(SKIP_1) | instid1(VALU_DEP_1)
	v_fma_f64 v[4:5], v[6:7], v[0:1], v[4:5]
	v_mul_f64 v[0:1], v[8:9], v[0:1]
	v_fma_f64 v[6:7], v[6:7], v[2:3], -v[0:1]
	ds_load_b128 v[0:3], v252 offset:1360
	s_waitcnt vmcnt(23) lgkmcnt(0)
	v_mul_f64 v[8:9], v[12:13], v[2:3]
	s_delay_alu instid0(VALU_DEP_1) | instskip(SKIP_1) | instid1(VALU_DEP_1)
	v_fma_f64 v[8:9], v[10:11], v[0:1], v[8:9]
	v_mul_f64 v[0:1], v[12:13], v[0:1]
	v_fma_f64 v[10:11], v[10:11], v[2:3], -v[0:1]
	ds_load_b128 v[0:3], v252 offset:2720
	s_waitcnt vmcnt(22) lgkmcnt(0)
	v_mul_f64 v[12:13], v[16:17], v[2:3]
	s_delay_alu instid0(VALU_DEP_1) | instskip(SKIP_1) | instid1(VALU_DEP_1)
	v_fma_f64 v[12:13], v[14:15], v[0:1], v[12:13]
	v_mul_f64 v[0:1], v[16:17], v[0:1]
	v_fma_f64 v[14:15], v[14:15], v[2:3], -v[0:1]
	ds_load_b128 v[0:3], v252 offset:4080
	s_waitcnt vmcnt(20) lgkmcnt(0)
	v_mul_f64 v[16:17], v[20:21], v[2:3]
	s_delay_alu instid0(VALU_DEP_1) | instskip(SKIP_1) | instid1(VALU_DEP_1)
	v_fma_f64 v[16:17], v[18:19], v[0:1], v[16:17]
	v_mul_f64 v[0:1], v[20:21], v[0:1]
	v_fma_f64 v[18:19], v[18:19], v[2:3], -v[0:1]
	ds_load_b128 v[0:3], v252 offset:5440
	s_waitcnt lgkmcnt(0)
	v_mul_f64 v[20:21], v[24:25], v[2:3]
	s_delay_alu instid0(VALU_DEP_1) | instskip(SKIP_1) | instid1(VALU_DEP_1)
	v_fma_f64 v[20:21], v[22:23], v[0:1], v[20:21]
	v_mul_f64 v[0:1], v[24:25], v[0:1]
	v_fma_f64 v[22:23], v[22:23], v[2:3], -v[0:1]
	ds_load_b128 v[0:3], v252 offset:6800
	s_waitcnt vmcnt(18) lgkmcnt(0)
	v_mul_f64 v[24:25], v[28:29], v[2:3]
	s_delay_alu instid0(VALU_DEP_1) | instskip(SKIP_1) | instid1(VALU_DEP_1)
	v_fma_f64 v[24:25], v[26:27], v[0:1], v[24:25]
	v_mul_f64 v[0:1], v[28:29], v[0:1]
	v_fma_f64 v[26:27], v[26:27], v[2:3], -v[0:1]
	ds_load_b128 v[0:3], v252 offset:8160
	s_waitcnt vmcnt(17) lgkmcnt(0)
	v_mul_f64 v[28:29], v[32:33], v[2:3]
	s_delay_alu instid0(VALU_DEP_1) | instskip(SKIP_1) | instid1(VALU_DEP_1)
	v_fma_f64 v[28:29], v[30:31], v[0:1], v[28:29]
	v_mul_f64 v[0:1], v[32:33], v[0:1]
	v_fma_f64 v[30:31], v[30:31], v[2:3], -v[0:1]
	ds_load_b128 v[0:3], v252 offset:272
	s_waitcnt lgkmcnt(0)
	v_mul_f64 v[32:33], v[36:37], v[2:3]
	s_delay_alu instid0(VALU_DEP_1) | instskip(SKIP_1) | instid1(VALU_DEP_1)
	v_fma_f64 v[32:33], v[34:35], v[0:1], v[32:33]
	v_mul_f64 v[0:1], v[36:37], v[0:1]
	v_fma_f64 v[34:35], v[34:35], v[2:3], -v[0:1]
	ds_load_b128 v[0:3], v252 offset:1632
	s_waitcnt vmcnt(16) lgkmcnt(0)
	v_mul_f64 v[36:37], v[40:41], v[2:3]
	s_delay_alu instid0(VALU_DEP_1) | instskip(SKIP_1) | instid1(VALU_DEP_1)
	v_fma_f64 v[36:37], v[38:39], v[0:1], v[36:37]
	v_mul_f64 v[0:1], v[40:41], v[0:1]
	v_fma_f64 v[38:39], v[38:39], v[2:3], -v[0:1]
	ds_load_b128 v[0:3], v252 offset:2992
	s_waitcnt vmcnt(14) lgkmcnt(0)
	;; [unrolled: 7-line block ×10, first 2 shown]
	v_mul_f64 v[72:73], v[76:77], v[2:3]
	s_delay_alu instid0(VALU_DEP_1) | instskip(SKIP_1) | instid1(VALU_DEP_1)
	v_fma_f64 v[72:73], v[74:75], v[0:1], v[72:73]
	v_mul_f64 v[0:1], v[76:77], v[0:1]
	v_fma_f64 v[74:75], v[74:75], v[2:3], -v[0:1]
	ds_load_b128 v[0:3], v252 offset:5984
	s_waitcnt lgkmcnt(0)
	v_mul_f64 v[76:77], v[80:81], v[2:3]
	s_delay_alu instid0(VALU_DEP_1) | instskip(SKIP_1) | instid1(VALU_DEP_1)
	v_fma_f64 v[76:77], v[78:79], v[0:1], v[76:77]
	v_mul_f64 v[0:1], v[80:81], v[0:1]
	v_fma_f64 v[78:79], v[78:79], v[2:3], -v[0:1]
	ds_load_b128 v[0:3], v252 offset:7344
	s_waitcnt lgkmcnt(0)
	;; [unrolled: 7-line block ×3, first 2 shown]
	v_mul_f64 v[84:85], v[88:89], v[2:3]
	s_delay_alu instid0(VALU_DEP_1) | instskip(SKIP_1) | instid1(VALU_DEP_1)
	v_fma_f64 v[84:85], v[86:87], v[0:1], v[84:85]
	v_mul_f64 v[0:1], v[88:89], v[0:1]
	v_fma_f64 v[86:87], v[86:87], v[2:3], -v[0:1]
	ds_load_b128 v[0:3], v252 offset:816
	s_waitcnt vmcnt(1) lgkmcnt(0)
	v_mul_f64 v[88:89], v[92:93], v[2:3]
	s_delay_alu instid0(VALU_DEP_1) | instskip(SKIP_1) | instid1(VALU_DEP_1)
	v_fma_f64 v[88:89], v[90:91], v[0:1], v[88:89]
	v_mul_f64 v[0:1], v[92:93], v[0:1]
	v_fma_f64 v[90:91], v[90:91], v[2:3], -v[0:1]
	ds_load_b128 v[0:3], v252 offset:2176
	s_waitcnt vmcnt(0) lgkmcnt(0)
	v_mul_f64 v[92:93], v[96:97], v[2:3]
	s_delay_alu instid0(VALU_DEP_1) | instskip(SKIP_1) | instid1(VALU_DEP_1)
	v_fma_f64 v[92:93], v[94:95], v[0:1], v[92:93]
	v_mul_f64 v[0:1], v[96:97], v[0:1]
	v_fma_f64 v[94:95], v[94:95], v[2:3], -v[0:1]
	ds_load_b128 v[0:3], v252 offset:3536
	s_waitcnt lgkmcnt(0)
	v_mul_f64 v[96:97], v[100:101], v[2:3]
	s_delay_alu instid0(VALU_DEP_1) | instskip(SKIP_1) | instid1(VALU_DEP_1)
	v_fma_f64 v[96:97], v[98:99], v[0:1], v[96:97]
	v_mul_f64 v[0:1], v[100:101], v[0:1]
	v_fma_f64 v[98:99], v[98:99], v[2:3], -v[0:1]
	ds_load_b128 v[0:3], v252 offset:4896
	s_waitcnt lgkmcnt(0)
	v_mul_f64 v[100:101], v[104:105], v[2:3]
	s_delay_alu instid0(VALU_DEP_1) | instskip(SKIP_1) | instid1(VALU_DEP_1)
	v_fma_f64 v[100:101], v[102:103], v[0:1], v[100:101]
	v_mul_f64 v[0:1], v[104:105], v[0:1]
	v_fma_f64 v[102:103], v[102:103], v[2:3], -v[0:1]
	scratch_load_b64 v[0:1], off, off offset:464 ; 8-byte Folded Reload
	v_mul_f64 v[2:3], v[6:7], s[0:1]
	s_waitcnt vmcnt(0)
	v_mov_b32_e32 v1, v0
	s_delay_alu instid0(VALU_DEP_1) | instskip(SKIP_1) | instid1(SALU_CYCLE_1)
	v_mad_u64_u32 v[104:105], null, s6, v1, 0
	s_mul_hi_u32 s6, s4, 0xffffe130
	s_sub_i32 s6, s6, s4
	s_delay_alu instid0(VALU_DEP_1) | instskip(NEXT) | instid1(VALU_DEP_1)
	v_mov_b32_e32 v0, v105
	v_mad_u64_u32 v[105:106], null, s7, v1, v[0:1]
	scratch_load_b32 v106, off, off         ; 4-byte Folded Reload
	v_mul_f64 v[0:1], v[4:5], s[0:1]
	s_mul_i32 s7, s5, 0xffffe130
	s_delay_alu instid0(SALU_CYCLE_1) | instskip(SKIP_3) | instid1(VALU_DEP_1)
	s_add_i32 s6, s6, s7
	s_mul_i32 s7, s4, 0xffffe130
	s_waitcnt vmcnt(0)
	v_mad_u64_u32 v[4:5], null, s4, v106, 0
	v_mad_u64_u32 v[6:7], null, s5, v106, v[5:6]
	s_delay_alu instid0(VALU_DEP_1) | instskip(SKIP_1) | instid1(VALU_DEP_2)
	v_mov_b32_e32 v5, v6
	v_lshlrev_b64 v[6:7], 4, v[104:105]
	v_lshlrev_b64 v[4:5], 4, v[4:5]
	s_delay_alu instid0(VALU_DEP_2) | instskip(NEXT) | instid1(VALU_DEP_3)
	v_add_co_u32 v104, vcc_lo, s2, v6
	v_add_co_ci_u32_e32 v105, vcc_lo, s3, v7, vcc_lo
	s_mul_i32 s2, s5, 0x550
	s_delay_alu instid0(VALU_DEP_2) | instskip(NEXT) | instid1(VALU_DEP_2)
	v_add_co_u32 v4, vcc_lo, v104, v4
	v_add_co_ci_u32_e32 v5, vcc_lo, v105, v5, vcc_lo
	s_mul_hi_u32 s3, s4, 0x550
	v_mul_f64 v[6:7], v[50:51], s[0:1]
	s_add_i32 s2, s3, s2
	global_store_b128 v[4:5], v[0:3], off
	v_mul_f64 v[0:1], v[8:9], s[0:1]
	v_mul_f64 v[2:3], v[10:11], s[0:1]
	s_mul_i32 s3, s4, 0x550
	v_mul_f64 v[8:9], v[52:53], s[0:1]
	v_add_co_u32 v4, vcc_lo, v4, s3
	v_add_co_ci_u32_e32 v5, vcc_lo, s2, v5, vcc_lo
	v_mul_f64 v[10:11], v[54:55], s[0:1]
	scratch_load_b128 v[50:53], off, off offset:684 ; 16-byte Folded Reload
	global_store_b128 v[4:5], v[0:3], off
	v_mul_f64 v[0:1], v[12:13], s[0:1]
	v_mul_f64 v[2:3], v[14:15], s[0:1]
	v_add_co_u32 v4, vcc_lo, v4, s3
	v_add_co_ci_u32_e32 v5, vcc_lo, s2, v5, vcc_lo
	v_mul_f64 v[14:15], v[58:59], s[0:1]
	global_store_b128 v[4:5], v[0:3], off
	v_mul_f64 v[0:1], v[16:17], s[0:1]
	v_mul_f64 v[2:3], v[18:19], s[0:1]
	v_add_co_u32 v4, vcc_lo, v4, s3
	v_add_co_ci_u32_e32 v5, vcc_lo, s2, v5, vcc_lo
	v_mul_f64 v[16:17], v[60:61], s[0:1]
	v_mul_f64 v[18:19], v[62:63], s[0:1]
	global_store_b128 v[4:5], v[0:3], off
	v_mul_f64 v[0:1], v[20:21], s[0:1]
	v_mul_f64 v[2:3], v[22:23], s[0:1]
	v_add_co_u32 v4, vcc_lo, v4, s3
	v_add_co_ci_u32_e32 v5, vcc_lo, s2, v5, vcc_lo
	v_mul_f64 v[22:23], v[66:67], s[0:1]
	global_store_b128 v[4:5], v[0:3], off
	v_mul_f64 v[0:1], v[24:25], s[0:1]
	v_mul_f64 v[2:3], v[26:27], s[0:1]
	v_add_co_u32 v4, vcc_lo, v4, s3
	v_add_co_ci_u32_e32 v5, vcc_lo, s2, v5, vcc_lo
	global_store_b128 v[4:5], v[0:3], off
	v_mul_f64 v[0:1], v[28:29], s[0:1]
	v_mul_f64 v[2:3], v[30:31], s[0:1]
	v_add_co_u32 v4, vcc_lo, v4, s3
	v_add_co_ci_u32_e32 v5, vcc_lo, s2, v5, vcc_lo
	;; [unrolled: 5-line block ×3, first 2 shown]
	v_mul_f64 v[32:33], v[80:81], s[0:1]
	v_mul_f64 v[34:35], v[82:83], s[0:1]
	global_store_b128 v[4:5], v[0:3], off
	v_mul_f64 v[0:1], v[36:37], s[0:1]
	v_mul_f64 v[2:3], v[38:39], s[0:1]
	v_add_co_u32 v4, vcc_lo, v4, s3
	v_add_co_ci_u32_e32 v5, vcc_lo, s2, v5, vcc_lo
	s_delay_alu instid0(VALU_DEP_2) | instskip(NEXT) | instid1(VALU_DEP_2)
	v_add_co_u32 v12, vcc_lo, v4, s3
	v_add_co_ci_u32_e32 v13, vcc_lo, s2, v5, vcc_lo
	s_delay_alu instid0(VALU_DEP_2) | instskip(NEXT) | instid1(VALU_DEP_2)
	;; [unrolled: 3-line block ×6, first 2 shown]
	v_add_co_u32 v30, vcc_lo, v28, s7
	v_add_co_ci_u32_e32 v31, vcc_lo, s6, v29, vcc_lo
	global_store_b128 v[4:5], v[0:3], off
	v_mul_f64 v[0:1], v[40:41], s[0:1]
	v_mul_f64 v[2:3], v[42:43], s[0:1]
	;; [unrolled: 1-line block ×3, first 2 shown]
	v_add_co_u32 v40, vcc_lo, v30, s3
	v_add_co_ci_u32_e32 v41, vcc_lo, s2, v31, vcc_lo
	s_delay_alu instid0(VALU_DEP_2) | instskip(NEXT) | instid1(VALU_DEP_2)
	v_add_co_u32 v42, vcc_lo, v40, s3
	v_add_co_ci_u32_e32 v43, vcc_lo, s2, v41, vcc_lo
	global_store_b128 v[12:13], v[0:3], off
	v_mul_f64 v[0:1], v[44:45], s[0:1]
	v_mul_f64 v[2:3], v[46:47], s[0:1]
	;; [unrolled: 1-line block ×3, first 2 shown]
	global_store_b128 v[20:21], v[0:3], off
	v_mul_f64 v[20:21], v[64:65], s[0:1]
	global_store_b128 v[24:25], v[4:7], off
	v_mul_f64 v[4:5], v[68:69], s[0:1]
	scratch_load_b128 v[66:69], off, off offset:636 ; 16-byte Folded Reload
	global_store_b128 v[26:27], v[8:11], off
	global_store_b128 v[28:29], v[12:15], off
	;; [unrolled: 1-line block ×3, first 2 shown]
	ds_load_b128 v[0:3], v252 offset:6256
	ds_load_b128 v[24:27], v252 offset:7616
	v_mul_f64 v[6:7], v[70:71], s[0:1]
	v_mul_f64 v[28:29], v[76:77], s[0:1]
	;; [unrolled: 1-line block ×3, first 2 shown]
	scratch_load_b128 v[76:79], off, off offset:716 ; 16-byte Folded Reload
	v_mul_f64 v[8:9], v[72:73], s[0:1]
	v_mul_f64 v[10:11], v[74:75], s[0:1]
	scratch_load_b128 v[70:73], off, off offset:732 ; 16-byte Folded Reload
	ds_load_b128 v[12:15], v252 offset:1088
	ds_load_b128 v[16:19], v252 offset:8976
	s_waitcnt vmcnt(3) lgkmcnt(3)
	v_mul_f64 v[36:37], v[52:53], v[2:3]
	v_mul_f64 v[38:39], v[52:53], v[0:1]
	global_store_b128 v[40:41], v[20:23], off
	scratch_load_b32 v23, off, off offset:472 ; 4-byte Folded Reload
	v_add_co_u32 v20, vcc_lo, v42, s3
	v_add_co_ci_u32_e32 v21, vcc_lo, s2, v43, vcc_lo
	s_delay_alu instid0(VALU_DEP_2)
	v_add_co_u32 v22, vcc_lo, v20, s3
	global_store_b128 v[42:43], v[4:7], off
	v_mul_f64 v[6:7], v[86:87], s[0:1]
	v_mul_f64 v[42:43], v[94:95], s[0:1]
	global_store_b128 v[20:21], v[8:11], off
	ds_load_b128 v[8:11], v252 offset:3808
	v_fma_f64 v[48:49], v[50:51], v[0:1], v[36:37]
	v_fma_f64 v[50:51], v[50:51], v[2:3], -v[38:39]
	ds_load_b128 v[0:3], v252 offset:2448
	s_waitcnt vmcnt(3) lgkmcnt(4)
	v_mul_f64 v[40:41], v[68:69], v[26:27]
	v_mul_f64 v[44:45], v[68:69], v[24:25]
	s_waitcnt vmcnt(2) lgkmcnt(3)
	v_mul_f64 v[56:57], v[78:79], v[14:15]
	v_mul_f64 v[58:59], v[78:79], v[12:13]
	s_waitcnt vmcnt(0)
	v_mad_u64_u32 v[46:47], null, s4, v23, 0
	v_fma_f64 v[64:65], v[66:67], v[24:25], v[40:41]
	v_fma_f64 v[66:67], v[66:67], v[26:27], -v[44:45]
	v_mul_f64 v[40:41], v[92:93], s[0:1]
	v_mul_f64 v[44:45], v[96:97], s[0:1]
	v_mov_b32_e32 v4, v47
	v_fma_f64 v[56:57], v[76:77], v[12:13], v[56:57]
	v_fma_f64 v[58:59], v[76:77], v[14:15], -v[58:59]
	s_delay_alu instid0(VALU_DEP_3) | instskip(SKIP_3) | instid1(VALU_DEP_3)
	v_mad_u64_u32 v[36:37], null, s5, v23, v[4:5]
	v_add_co_ci_u32_e32 v23, vcc_lo, s2, v21, vcc_lo
	v_add_co_u32 v60, vcc_lo, v22, s3
	v_mul_f64 v[4:5], v[84:85], s[0:1]
	v_add_co_ci_u32_e32 v61, vcc_lo, s2, v23, vcc_lo
	global_store_b128 v[22:23], v[28:31], off
	v_mov_b32_e32 v47, v36
	ds_load_b128 v[20:23], v252 offset:5168
	global_store_b128 v[60:61], v[32:35], off
	ds_load_b128 v[28:31], v252 offset:6528
	ds_load_b128 v[24:27], v252 offset:7888
	;; [unrolled: 1-line block ×3, first 2 shown]
	scratch_load_b128 v[80:83], off, off offset:652 ; 16-byte Folded Reload
	s_waitcnt lgkmcnt(6)
	v_mul_f64 v[52:53], v[72:73], v[18:19]
	v_mul_f64 v[54:55], v[72:73], v[16:17]
	;; [unrolled: 1-line block ×4, first 2 shown]
	v_lshlrev_b64 v[62:63], 4, v[46:47]
	v_mul_f64 v[46:47], v[98:99], s[0:1]
	s_mulk_i32 s5, 0xe680
	s_delay_alu instid0(VALU_DEP_2) | instskip(NEXT) | instid1(VALU_DEP_3)
	v_add_co_u32 v62, vcc_lo, v104, v62
	v_add_co_ci_u32_e32 v63, vcc_lo, v105, v63, vcc_lo
	global_store_b128 v[62:63], v[4:7], off
	v_mad_u64_u32 v[62:63], null, 0xffffe680, s4, v[60:61]
	s_sub_i32 s4, s5, s4
	s_delay_alu instid0(VALU_DEP_1) | instid1(SALU_CYCLE_1)
	v_add_nc_u32_e32 v63, s4, v63
	v_fma_f64 v[16:17], v[70:71], v[16:17], v[52:53]
	v_fma_f64 v[18:19], v[70:71], v[18:19], -v[54:55]
	s_delay_alu instid0(VALU_DEP_4) | instskip(NEXT) | instid1(VALU_DEP_4)
	v_add_co_u32 v60, vcc_lo, v62, s3
	v_add_co_ci_u32_e32 v61, vcc_lo, s2, v63, vcc_lo
	global_store_b128 v[62:63], v[32:35], off
	v_add_co_u32 v32, vcc_lo, v60, s3
	v_add_co_ci_u32_e32 v33, vcc_lo, s2, v61, vcc_lo
	s_waitcnt vmcnt(0) lgkmcnt(4)
	v_mul_f64 v[68:69], v[82:83], v[2:3]
	v_mul_f64 v[52:53], v[82:83], v[0:1]
	scratch_load_b128 v[82:85], off, off offset:668 ; 16-byte Folded Reload
	v_fma_f64 v[34:35], v[80:81], v[0:1], v[68:69]
	v_mul_f64 v[0:1], v[100:101], s[0:1]
	s_waitcnt vmcnt(0)
	v_mul_f64 v[54:55], v[84:85], v[10:11]
	v_mul_f64 v[70:71], v[84:85], v[8:9]
	scratch_load_b128 v[84:87], off, off offset:700 ; 16-byte Folded Reload
	s_waitcnt vmcnt(0) lgkmcnt(3)
	v_mul_f64 v[72:73], v[86:87], v[22:23]
	v_mul_f64 v[74:75], v[86:87], v[20:21]
	scratch_load_b128 v[86:89], off, off offset:748 ; 16-byte Folded Reload
	s_waitcnt vmcnt(0) lgkmcnt(2)
	;; [unrolled: 4-line block ×3, first 2 shown]
	v_mul_f64 v[76:77], v[90:91], v[26:27]
	v_mul_f64 v[78:79], v[90:91], v[24:25]
	scratch_load_b128 v[90:93], off, off offset:780 ; 16-byte Folded Reload
	global_store_b128 v[60:61], v[40:43], off
	global_store_b128 v[32:33], v[44:47], off
	v_fma_f64 v[40:41], v[80:81], v[2:3], -v[52:53]
	v_fma_f64 v[42:43], v[82:83], v[8:9], v[54:55]
	v_fma_f64 v[44:45], v[82:83], v[10:11], -v[70:71]
	v_fma_f64 v[46:47], v[84:85], v[20:21], v[72:73]
	;; [unrolled: 2-line block ×3, first 2 shown]
	v_fma_f64 v[60:61], v[86:87], v[30:31], -v[14:15]
	v_mul_f64 v[2:3], v[102:103], s[0:1]
	v_add_co_u32 v74, vcc_lo, v32, s3
	v_add_co_ci_u32_e32 v75, vcc_lo, s2, v33, vcc_lo
	v_mul_f64 v[8:9], v[64:65], s[0:1]
	v_mul_f64 v[10:11], v[66:67], s[0:1]
	v_mul_f64 v[12:13], v[16:17], s[0:1]
	v_mul_f64 v[14:15], v[18:19], s[0:1]
	v_mul_f64 v[16:17], v[56:57], s[0:1]
	v_mul_f64 v[18:19], v[58:59], s[0:1]
	v_mul_f64 v[20:21], v[34:35], s[0:1]
	v_fma_f64 v[62:63], v[88:89], v[24:25], v[76:77]
	v_fma_f64 v[68:69], v[88:89], v[26:27], -v[78:79]
	v_mul_f64 v[22:23], v[40:41], s[0:1]
	v_mul_f64 v[24:25], v[42:43], s[0:1]
	;; [unrolled: 1-line block ×7, first 2 shown]
	global_store_b128 v[74:75], v[0:3], off
	s_waitcnt vmcnt(0) lgkmcnt(0)
	v_mul_f64 v[4:5], v[92:93], v[38:39]
	v_mul_f64 v[6:7], v[92:93], v[36:37]
	s_delay_alu instid0(VALU_DEP_2) | instskip(NEXT) | instid1(VALU_DEP_2)
	v_fma_f64 v[70:71], v[90:91], v[36:37], v[4:5]
	v_fma_f64 v[72:73], v[90:91], v[38:39], -v[6:7]
	v_mul_f64 v[4:5], v[48:49], s[0:1]
	v_mul_f64 v[6:7], v[50:51], s[0:1]
	v_add_co_u32 v48, vcc_lo, v74, s3
	v_add_co_ci_u32_e32 v49, vcc_lo, s2, v75, vcc_lo
	v_mul_f64 v[36:37], v[62:63], s[0:1]
	s_delay_alu instid0(VALU_DEP_3) | instskip(NEXT) | instid1(VALU_DEP_3)
	v_add_co_u32 v50, vcc_lo, v48, s3
	v_add_co_ci_u32_e32 v51, vcc_lo, s2, v49, vcc_lo
	v_mul_f64 v[38:39], v[68:69], s[0:1]
	s_delay_alu instid0(VALU_DEP_3) | instskip(NEXT) | instid1(VALU_DEP_3)
	v_add_co_u32 v56, vcc_lo, v50, s3
	v_add_co_ci_u32_e32 v57, vcc_lo, s2, v51, vcc_lo
	s_delay_alu instid0(VALU_DEP_2) | instskip(NEXT) | instid1(VALU_DEP_2)
	v_add_co_u32 v44, vcc_lo, v56, s7
	v_add_co_ci_u32_e32 v45, vcc_lo, s6, v57, vcc_lo
	s_delay_alu instid0(VALU_DEP_2) | instskip(NEXT) | instid1(VALU_DEP_2)
	;; [unrolled: 3-line block ×3, first 2 shown]
	v_add_co_u32 v2, vcc_lo, v0, s3
	v_add_co_ci_u32_e32 v3, vcc_lo, s2, v1, vcc_lo
	v_mul_f64 v[40:41], v[70:71], s[0:1]
	v_mul_f64 v[42:43], v[72:73], s[0:1]
	global_store_b128 v[48:49], v[4:7], off
	v_add_co_u32 v4, vcc_lo, v2, s3
	v_add_co_ci_u32_e32 v5, vcc_lo, s2, v3, vcc_lo
	global_store_b128 v[50:51], v[8:11], off
	v_add_co_u32 v6, vcc_lo, v4, s3
	v_add_co_ci_u32_e32 v7, vcc_lo, s2, v5, vcc_lo
	;; [unrolled: 3-line block ×3, first 2 shown]
	global_store_b128 v[44:45], v[16:19], off
	global_store_b128 v[0:1], v[20:23], off
	v_add_co_u32 v0, vcc_lo, v8, s3
	v_add_co_ci_u32_e32 v1, vcc_lo, s2, v9, vcc_lo
	global_store_b128 v[2:3], v[24:27], off
	global_store_b128 v[4:5], v[28:31], off
	;; [unrolled: 1-line block ×5, first 2 shown]
.LBB0_10:
	s_nop 0
	s_sendmsg sendmsg(MSG_DEALLOC_VGPRS)
	s_endpgm
	.section	.rodata,"a",@progbits
	.p2align	6, 0x0
	.amdhsa_kernel bluestein_single_fwd_len595_dim1_dp_op_CI_CI
		.amdhsa_group_segment_fixed_size 28560
		.amdhsa_private_segment_fixed_size 2348
		.amdhsa_kernarg_size 104
		.amdhsa_user_sgpr_count 15
		.amdhsa_user_sgpr_dispatch_ptr 0
		.amdhsa_user_sgpr_queue_ptr 0
		.amdhsa_user_sgpr_kernarg_segment_ptr 1
		.amdhsa_user_sgpr_dispatch_id 0
		.amdhsa_user_sgpr_private_segment_size 0
		.amdhsa_wavefront_size32 1
		.amdhsa_uses_dynamic_stack 0
		.amdhsa_enable_private_segment 1
		.amdhsa_system_sgpr_workgroup_id_x 1
		.amdhsa_system_sgpr_workgroup_id_y 0
		.amdhsa_system_sgpr_workgroup_id_z 0
		.amdhsa_system_sgpr_workgroup_info 0
		.amdhsa_system_vgpr_workitem_id 0
		.amdhsa_next_free_vgpr 256
		.amdhsa_next_free_sgpr 60
		.amdhsa_reserve_vcc 1
		.amdhsa_float_round_mode_32 0
		.amdhsa_float_round_mode_16_64 0
		.amdhsa_float_denorm_mode_32 3
		.amdhsa_float_denorm_mode_16_64 3
		.amdhsa_dx10_clamp 1
		.amdhsa_ieee_mode 1
		.amdhsa_fp16_overflow 0
		.amdhsa_workgroup_processor_mode 1
		.amdhsa_memory_ordered 1
		.amdhsa_forward_progress 0
		.amdhsa_shared_vgpr_count 0
		.amdhsa_exception_fp_ieee_invalid_op 0
		.amdhsa_exception_fp_denorm_src 0
		.amdhsa_exception_fp_ieee_div_zero 0
		.amdhsa_exception_fp_ieee_overflow 0
		.amdhsa_exception_fp_ieee_underflow 0
		.amdhsa_exception_fp_ieee_inexact 0
		.amdhsa_exception_int_div_zero 0
	.end_amdhsa_kernel
	.text
.Lfunc_end0:
	.size	bluestein_single_fwd_len595_dim1_dp_op_CI_CI, .Lfunc_end0-bluestein_single_fwd_len595_dim1_dp_op_CI_CI
                                        ; -- End function
	.section	.AMDGPU.csdata,"",@progbits
; Kernel info:
; codeLenInByte = 76356
; NumSgprs: 62
; NumVgprs: 256
; ScratchSize: 2348
; MemoryBound: 0
; FloatMode: 240
; IeeeMode: 1
; LDSByteSize: 28560 bytes/workgroup (compile time only)
; SGPRBlocks: 7
; VGPRBlocks: 31
; NumSGPRsForWavesPerEU: 62
; NumVGPRsForWavesPerEU: 256
; Occupancy: 2
; WaveLimiterHint : 1
; COMPUTE_PGM_RSRC2:SCRATCH_EN: 1
; COMPUTE_PGM_RSRC2:USER_SGPR: 15
; COMPUTE_PGM_RSRC2:TRAP_HANDLER: 0
; COMPUTE_PGM_RSRC2:TGID_X_EN: 1
; COMPUTE_PGM_RSRC2:TGID_Y_EN: 0
; COMPUTE_PGM_RSRC2:TGID_Z_EN: 0
; COMPUTE_PGM_RSRC2:TIDIG_COMP_CNT: 0
	.text
	.p2alignl 7, 3214868480
	.fill 96, 4, 3214868480
	.type	__hip_cuid_f087cea17d548d8d,@object ; @__hip_cuid_f087cea17d548d8d
	.section	.bss,"aw",@nobits
	.globl	__hip_cuid_f087cea17d548d8d
__hip_cuid_f087cea17d548d8d:
	.byte	0                               ; 0x0
	.size	__hip_cuid_f087cea17d548d8d, 1

	.ident	"AMD clang version 19.0.0git (https://github.com/RadeonOpenCompute/llvm-project roc-6.4.0 25133 c7fe45cf4b819c5991fe208aaa96edf142730f1d)"
	.section	".note.GNU-stack","",@progbits
	.addrsig
	.addrsig_sym __hip_cuid_f087cea17d548d8d
	.amdgpu_metadata
---
amdhsa.kernels:
  - .args:
      - .actual_access:  read_only
        .address_space:  global
        .offset:         0
        .size:           8
        .value_kind:     global_buffer
      - .actual_access:  read_only
        .address_space:  global
        .offset:         8
        .size:           8
        .value_kind:     global_buffer
      - .actual_access:  read_only
        .address_space:  global
        .offset:         16
        .size:           8
        .value_kind:     global_buffer
      - .actual_access:  read_only
        .address_space:  global
        .offset:         24
        .size:           8
        .value_kind:     global_buffer
      - .actual_access:  read_only
        .address_space:  global
        .offset:         32
        .size:           8
        .value_kind:     global_buffer
      - .offset:         40
        .size:           8
        .value_kind:     by_value
      - .address_space:  global
        .offset:         48
        .size:           8
        .value_kind:     global_buffer
      - .address_space:  global
        .offset:         56
        .size:           8
        .value_kind:     global_buffer
      - .address_space:  global
        .offset:         64
        .size:           8
        .value_kind:     global_buffer
      - .address_space:  global
        .offset:         72
        .size:           8
        .value_kind:     global_buffer
      - .offset:         80
        .size:           4
        .value_kind:     by_value
      - .address_space:  global
        .offset:         88
        .size:           8
        .value_kind:     global_buffer
      - .address_space:  global
        .offset:         96
        .size:           8
        .value_kind:     global_buffer
    .group_segment_fixed_size: 28560
    .kernarg_segment_align: 8
    .kernarg_segment_size: 104
    .language:       OpenCL C
    .language_version:
      - 2
      - 0
    .max_flat_workgroup_size: 51
    .name:           bluestein_single_fwd_len595_dim1_dp_op_CI_CI
    .private_segment_fixed_size: 2348
    .sgpr_count:     62
    .sgpr_spill_count: 0
    .symbol:         bluestein_single_fwd_len595_dim1_dp_op_CI_CI.kd
    .uniform_work_group_size: 1
    .uses_dynamic_stack: false
    .vgpr_count:     256
    .vgpr_spill_count: 798
    .wavefront_size: 32
    .workgroup_processor_mode: 1
amdhsa.target:   amdgcn-amd-amdhsa--gfx1100
amdhsa.version:
  - 1
  - 2
...

	.end_amdgpu_metadata
